;; amdgpu-corpus repo=ROCm/rocFFT kind=compiled arch=gfx1030 opt=O3
	.text
	.amdgcn_target "amdgcn-amd-amdhsa--gfx1030"
	.amdhsa_code_object_version 6
	.protected	fft_rtc_back_len850_factors_10_5_17_wgs_85_tpt_85_dp_op_CI_CI_unitstride_sbrr_R2C_dirReg ; -- Begin function fft_rtc_back_len850_factors_10_5_17_wgs_85_tpt_85_dp_op_CI_CI_unitstride_sbrr_R2C_dirReg
	.globl	fft_rtc_back_len850_factors_10_5_17_wgs_85_tpt_85_dp_op_CI_CI_unitstride_sbrr_R2C_dirReg
	.p2align	8
	.type	fft_rtc_back_len850_factors_10_5_17_wgs_85_tpt_85_dp_op_CI_CI_unitstride_sbrr_R2C_dirReg,@function
fft_rtc_back_len850_factors_10_5_17_wgs_85_tpt_85_dp_op_CI_CI_unitstride_sbrr_R2C_dirReg: ; @fft_rtc_back_len850_factors_10_5_17_wgs_85_tpt_85_dp_op_CI_CI_unitstride_sbrr_R2C_dirReg
; %bb.0:
	s_clause 0x2
	s_load_dwordx4 s[12:15], s[4:5], 0x0
	s_load_dwordx4 s[8:11], s[4:5], 0x58
	;; [unrolled: 1-line block ×3, first 2 shown]
	v_mul_u32_u24_e32 v1, 0x304, v0
	v_mov_b32_e32 v3, 0
	v_add_nc_u32_sdwa v5, s6, v1 dst_sel:DWORD dst_unused:UNUSED_PAD src0_sel:DWORD src1_sel:WORD_1
	v_mov_b32_e32 v1, 0
	v_mov_b32_e32 v6, v3
	v_mov_b32_e32 v2, 0
	s_waitcnt lgkmcnt(0)
	v_cmp_lt_u64_e64 s0, s[14:15], 2
	s_and_b32 vcc_lo, exec_lo, s0
	s_cbranch_vccnz .LBB0_8
; %bb.1:
	s_load_dwordx2 s[0:1], s[4:5], 0x10
	v_mov_b32_e32 v1, 0
	v_mov_b32_e32 v2, 0
	s_add_u32 s2, s18, 8
	s_addc_u32 s3, s19, 0
	s_add_u32 s6, s16, 8
	s_addc_u32 s7, s17, 0
	v_mov_b32_e32 v69, v2
	v_mov_b32_e32 v68, v1
	s_mov_b64 s[22:23], 1
	s_waitcnt lgkmcnt(0)
	s_add_u32 s20, s0, 8
	s_addc_u32 s21, s1, 0
.LBB0_2:                                ; =>This Inner Loop Header: Depth=1
	s_load_dwordx2 s[24:25], s[20:21], 0x0
                                        ; implicit-def: $vgpr72_vgpr73
	s_mov_b32 s0, exec_lo
	s_waitcnt lgkmcnt(0)
	v_or_b32_e32 v4, s25, v6
	v_cmpx_ne_u64_e32 0, v[3:4]
	s_xor_b32 s1, exec_lo, s0
	s_cbranch_execz .LBB0_4
; %bb.3:                                ;   in Loop: Header=BB0_2 Depth=1
	v_cvt_f32_u32_e32 v4, s24
	v_cvt_f32_u32_e32 v7, s25
	s_sub_u32 s0, 0, s24
	s_subb_u32 s26, 0, s25
	v_fmac_f32_e32 v4, 0x4f800000, v7
	v_rcp_f32_e32 v4, v4
	v_mul_f32_e32 v4, 0x5f7ffffc, v4
	v_mul_f32_e32 v7, 0x2f800000, v4
	v_trunc_f32_e32 v7, v7
	v_fmac_f32_e32 v4, 0xcf800000, v7
	v_cvt_u32_f32_e32 v7, v7
	v_cvt_u32_f32_e32 v4, v4
	v_mul_lo_u32 v8, s0, v7
	v_mul_hi_u32 v9, s0, v4
	v_mul_lo_u32 v10, s26, v4
	v_add_nc_u32_e32 v8, v9, v8
	v_mul_lo_u32 v9, s0, v4
	v_add_nc_u32_e32 v8, v8, v10
	v_mul_hi_u32 v10, v4, v9
	v_mul_lo_u32 v11, v4, v8
	v_mul_hi_u32 v12, v4, v8
	v_mul_hi_u32 v13, v7, v9
	v_mul_lo_u32 v9, v7, v9
	v_mul_hi_u32 v14, v7, v8
	v_mul_lo_u32 v8, v7, v8
	v_add_co_u32 v10, vcc_lo, v10, v11
	v_add_co_ci_u32_e32 v11, vcc_lo, 0, v12, vcc_lo
	v_add_co_u32 v9, vcc_lo, v10, v9
	v_add_co_ci_u32_e32 v9, vcc_lo, v11, v13, vcc_lo
	v_add_co_ci_u32_e32 v10, vcc_lo, 0, v14, vcc_lo
	v_add_co_u32 v8, vcc_lo, v9, v8
	v_add_co_ci_u32_e32 v9, vcc_lo, 0, v10, vcc_lo
	v_add_co_u32 v4, vcc_lo, v4, v8
	v_add_co_ci_u32_e32 v7, vcc_lo, v7, v9, vcc_lo
	v_mul_hi_u32 v8, s0, v4
	v_mul_lo_u32 v10, s26, v4
	v_mul_lo_u32 v9, s0, v7
	v_add_nc_u32_e32 v8, v8, v9
	v_mul_lo_u32 v9, s0, v4
	v_add_nc_u32_e32 v8, v8, v10
	v_mul_hi_u32 v10, v4, v9
	v_mul_lo_u32 v11, v4, v8
	v_mul_hi_u32 v12, v4, v8
	v_mul_hi_u32 v13, v7, v9
	v_mul_lo_u32 v9, v7, v9
	v_mul_hi_u32 v14, v7, v8
	v_mul_lo_u32 v8, v7, v8
	v_add_co_u32 v10, vcc_lo, v10, v11
	v_add_co_ci_u32_e32 v11, vcc_lo, 0, v12, vcc_lo
	v_add_co_u32 v9, vcc_lo, v10, v9
	v_add_co_ci_u32_e32 v9, vcc_lo, v11, v13, vcc_lo
	v_add_co_ci_u32_e32 v10, vcc_lo, 0, v14, vcc_lo
	v_add_co_u32 v8, vcc_lo, v9, v8
	v_add_co_ci_u32_e32 v9, vcc_lo, 0, v10, vcc_lo
	v_add_co_u32 v4, vcc_lo, v4, v8
	v_add_co_ci_u32_e32 v11, vcc_lo, v7, v9, vcc_lo
	v_mul_hi_u32 v13, v5, v4
	v_mad_u64_u32 v[9:10], null, v6, v4, 0
	v_mad_u64_u32 v[7:8], null, v5, v11, 0
	;; [unrolled: 1-line block ×3, first 2 shown]
	v_add_co_u32 v4, vcc_lo, v13, v7
	v_add_co_ci_u32_e32 v7, vcc_lo, 0, v8, vcc_lo
	v_add_co_u32 v4, vcc_lo, v4, v9
	v_add_co_ci_u32_e32 v4, vcc_lo, v7, v10, vcc_lo
	v_add_co_ci_u32_e32 v7, vcc_lo, 0, v12, vcc_lo
	v_add_co_u32 v4, vcc_lo, v4, v11
	v_add_co_ci_u32_e32 v9, vcc_lo, 0, v7, vcc_lo
	v_mul_lo_u32 v10, s25, v4
	v_mad_u64_u32 v[7:8], null, s24, v4, 0
	v_mul_lo_u32 v11, s24, v9
	v_sub_co_u32 v7, vcc_lo, v5, v7
	v_add3_u32 v8, v8, v11, v10
	v_sub_nc_u32_e32 v10, v6, v8
	v_subrev_co_ci_u32_e64 v10, s0, s25, v10, vcc_lo
	v_add_co_u32 v11, s0, v4, 2
	v_add_co_ci_u32_e64 v12, s0, 0, v9, s0
	v_sub_co_u32 v13, s0, v7, s24
	v_sub_co_ci_u32_e32 v8, vcc_lo, v6, v8, vcc_lo
	v_subrev_co_ci_u32_e64 v10, s0, 0, v10, s0
	v_cmp_le_u32_e32 vcc_lo, s24, v13
	v_cmp_eq_u32_e64 s0, s25, v8
	v_cndmask_b32_e64 v13, 0, -1, vcc_lo
	v_cmp_le_u32_e32 vcc_lo, s25, v10
	v_cndmask_b32_e64 v14, 0, -1, vcc_lo
	v_cmp_le_u32_e32 vcc_lo, s24, v7
	;; [unrolled: 2-line block ×3, first 2 shown]
	v_cndmask_b32_e64 v15, 0, -1, vcc_lo
	v_cmp_eq_u32_e32 vcc_lo, s25, v10
	v_cndmask_b32_e64 v7, v15, v7, s0
	v_cndmask_b32_e32 v10, v14, v13, vcc_lo
	v_add_co_u32 v13, vcc_lo, v4, 1
	v_add_co_ci_u32_e32 v14, vcc_lo, 0, v9, vcc_lo
	v_cmp_ne_u32_e32 vcc_lo, 0, v10
	v_cndmask_b32_e32 v8, v14, v12, vcc_lo
	v_cndmask_b32_e32 v10, v13, v11, vcc_lo
	v_cmp_ne_u32_e32 vcc_lo, 0, v7
	v_cndmask_b32_e32 v73, v9, v8, vcc_lo
	v_cndmask_b32_e32 v72, v4, v10, vcc_lo
.LBB0_4:                                ;   in Loop: Header=BB0_2 Depth=1
	s_andn2_saveexec_b32 s0, s1
	s_cbranch_execz .LBB0_6
; %bb.5:                                ;   in Loop: Header=BB0_2 Depth=1
	v_cvt_f32_u32_e32 v4, s24
	s_sub_i32 s1, 0, s24
	v_mov_b32_e32 v73, v3
	v_rcp_iflag_f32_e32 v4, v4
	v_mul_f32_e32 v4, 0x4f7ffffe, v4
	v_cvt_u32_f32_e32 v4, v4
	v_mul_lo_u32 v7, s1, v4
	v_mul_hi_u32 v7, v4, v7
	v_add_nc_u32_e32 v4, v4, v7
	v_mul_hi_u32 v4, v5, v4
	v_mul_lo_u32 v7, v4, s24
	v_add_nc_u32_e32 v8, 1, v4
	v_sub_nc_u32_e32 v7, v5, v7
	v_subrev_nc_u32_e32 v9, s24, v7
	v_cmp_le_u32_e32 vcc_lo, s24, v7
	v_cndmask_b32_e32 v7, v7, v9, vcc_lo
	v_cndmask_b32_e32 v4, v4, v8, vcc_lo
	v_cmp_le_u32_e32 vcc_lo, s24, v7
	v_add_nc_u32_e32 v8, 1, v4
	v_cndmask_b32_e32 v72, v4, v8, vcc_lo
.LBB0_6:                                ;   in Loop: Header=BB0_2 Depth=1
	s_or_b32 exec_lo, exec_lo, s0
	v_mul_lo_u32 v4, v73, s24
	v_mul_lo_u32 v9, v72, s25
	s_load_dwordx2 s[0:1], s[6:7], 0x0
	v_mad_u64_u32 v[7:8], null, v72, s24, 0
	s_load_dwordx2 s[24:25], s[2:3], 0x0
	s_add_u32 s22, s22, 1
	s_addc_u32 s23, s23, 0
	s_add_u32 s2, s2, 8
	s_addc_u32 s3, s3, 0
	s_add_u32 s6, s6, 8
	v_add3_u32 v4, v8, v9, v4
	v_sub_co_u32 v5, vcc_lo, v5, v7
	s_addc_u32 s7, s7, 0
	s_add_u32 s20, s20, 8
	v_sub_co_ci_u32_e32 v4, vcc_lo, v6, v4, vcc_lo
	s_addc_u32 s21, s21, 0
	s_waitcnt lgkmcnt(0)
	v_mul_lo_u32 v6, s0, v4
	v_mul_lo_u32 v7, s1, v5
	v_mad_u64_u32 v[1:2], null, s0, v5, v[1:2]
	v_mul_lo_u32 v4, s24, v4
	v_mul_lo_u32 v8, s25, v5
	v_mad_u64_u32 v[68:69], null, s24, v5, v[68:69]
	v_cmp_ge_u64_e64 s0, s[22:23], s[14:15]
	v_add3_u32 v2, v7, v2, v6
	v_add3_u32 v69, v8, v69, v4
	s_and_b32 vcc_lo, exec_lo, s0
	s_cbranch_vccnz .LBB0_9
; %bb.7:                                ;   in Loop: Header=BB0_2 Depth=1
	v_mov_b32_e32 v5, v72
	v_mov_b32_e32 v6, v73
	s_branch .LBB0_2
.LBB0_8:
	v_mov_b32_e32 v69, v2
	v_mov_b32_e32 v73, v6
	;; [unrolled: 1-line block ×4, first 2 shown]
.LBB0_9:
	s_load_dwordx2 s[0:1], s[4:5], 0x28
	v_mul_hi_u32 v3, 0x3030304, v0
	s_lshl_b64 s[4:5], s[14:15], 3
                                        ; implicit-def: $vgpr70
                                        ; implicit-def: $vgpr74
	s_add_u32 s2, s18, s4
	s_addc_u32 s3, s19, s5
	s_waitcnt lgkmcnt(0)
	v_cmp_gt_u64_e32 vcc_lo, s[0:1], v[72:73]
	v_cmp_le_u64_e64 s0, s[0:1], v[72:73]
	s_and_saveexec_b32 s1, s0
	s_xor_b32 s0, exec_lo, s1
; %bb.10:
	v_mul_u32_u24_e32 v1, 0x55, v3
                                        ; implicit-def: $vgpr3
	v_sub_nc_u32_e32 v70, v0, v1
                                        ; implicit-def: $vgpr0
                                        ; implicit-def: $vgpr1_vgpr2
	v_add_nc_u32_e32 v74, 0x55, v70
; %bb.11:
	s_andn2_saveexec_b32 s1, s0
	s_cbranch_execz .LBB0_13
; %bb.12:
	s_add_u32 s4, s16, s4
	s_addc_u32 s5, s17, s5
	v_lshlrev_b64 v[1:2], 4, v[1:2]
	s_load_dwordx2 s[4:5], s[4:5], 0x0
	s_waitcnt lgkmcnt(0)
	v_mul_lo_u32 v6, s5, v72
	v_mul_lo_u32 v7, s4, v73
	v_mad_u64_u32 v[4:5], null, s4, v72, 0
	v_add3_u32 v5, v5, v7, v6
	v_mul_u32_u24_e32 v6, 0x55, v3
	v_lshlrev_b64 v[3:4], 4, v[4:5]
	v_sub_nc_u32_e32 v70, v0, v6
	v_lshlrev_b32_e32 v40, 4, v70
	v_add_co_u32 v0, s0, s8, v3
	v_add_co_ci_u32_e64 v3, s0, s9, v4, s0
	v_add_nc_u32_e32 v74, 0x55, v70
	v_add_co_u32 v0, s0, v0, v1
	v_add_co_ci_u32_e64 v1, s0, v3, v2, s0
	v_add_co_u32 v8, s0, v0, v40
	v_add_co_ci_u32_e64 v9, s0, 0, v1, s0
	s_clause 0x1
	global_load_dwordx4 v[0:3], v[8:9], off
	global_load_dwordx4 v[4:7], v[8:9], off offset:1360
	v_add_co_u32 v12, s0, 0x800, v8
	v_add_co_ci_u32_e64 v13, s0, 0, v9, s0
	v_add_co_u32 v16, s0, 0x1000, v8
	v_add_co_ci_u32_e64 v17, s0, 0, v9, s0
	;; [unrolled: 2-line block ×5, first 2 shown]
	s_clause 0x7
	global_load_dwordx4 v[8:11], v[12:13], off offset:672
	global_load_dwordx4 v[12:15], v[12:13], off offset:2032
	global_load_dwordx4 v[16:19], v[16:17], off offset:1344
	global_load_dwordx4 v[20:23], v[24:25], off offset:656
	global_load_dwordx4 v[24:27], v[24:25], off offset:2016
	global_load_dwordx4 v[28:31], v[28:29], off offset:1328
	global_load_dwordx4 v[32:35], v[36:37], off offset:640
	global_load_dwordx4 v[36:39], v[36:37], off offset:2000
	v_add_nc_u32_e32 v40, 0, v40
	s_waitcnt vmcnt(9)
	ds_write_b128 v40, v[0:3]
	s_waitcnt vmcnt(8)
	ds_write_b128 v40, v[4:7] offset:1360
	s_waitcnt vmcnt(7)
	ds_write_b128 v40, v[8:11] offset:2720
	;; [unrolled: 2-line block ×9, first 2 shown]
.LBB0_13:
	s_or_b32 exec_lo, exec_lo, s1
	v_lshl_add_u32 v195, v70, 4, 0
	s_load_dwordx2 s[2:3], s[2:3], 0x0
	s_waitcnt lgkmcnt(0)
	s_barrier
	buffer_gl0_inv
	ds_read_b128 v[8:11], v195 offset:4080
	ds_read_b128 v[12:15], v195 offset:6800
	;; [unrolled: 1-line block ×8, first 2 shown]
	ds_read_b128 v[32:35], v195
	ds_read_b128 v[36:39], v195 offset:1360
	s_mov_b32 s8, 0x134454ff
	s_mov_b32 s9, 0xbfee6f0e
	;; [unrolled: 1-line block ×12, first 2 shown]
	s_waitcnt lgkmcnt(8)
	v_add_f64 v[83:84], v[8:9], -v[12:13]
	s_waitcnt lgkmcnt(7)
	v_add_f64 v[40:41], v[14:15], v[18:19]
	s_waitcnt lgkmcnt(6)
	v_add_f64 v[42:43], v[10:11], v[2:3]
	v_add_f64 v[44:45], v[12:13], v[16:17]
	;; [unrolled: 1-line block ×3, first 2 shown]
	v_add_f64 v[56:57], v[8:9], -v[0:1]
	v_add_f64 v[58:59], v[12:13], -v[16:17]
	;; [unrolled: 1-line block ×3, first 2 shown]
	s_waitcnt lgkmcnt(4)
	v_add_f64 v[46:47], v[20:21], v[24:25]
	s_waitcnt lgkmcnt(2)
	v_add_f64 v[48:49], v[28:29], v[4:5]
	v_add_f64 v[50:51], v[22:23], v[26:27]
	;; [unrolled: 1-line block ×3, first 2 shown]
	v_add_f64 v[85:86], v[10:11], -v[14:15]
	v_add_f64 v[87:88], v[14:15], -v[10:11]
	;; [unrolled: 1-line block ×6, first 2 shown]
	s_waitcnt lgkmcnt(1)
	v_add_f64 v[62:63], v[32:33], v[28:29]
	v_add_f64 v[64:65], v[34:35], v[30:31]
	s_waitcnt lgkmcnt(0)
	v_add_f64 v[10:11], v[38:39], v[10:11]
	v_add_f64 v[66:67], v[30:31], -v[6:7]
	v_add_f64 v[75:76], v[28:29], -v[20:21]
	v_fma_f64 v[40:41], v[40:41], -0.5, v[38:39]
	v_fma_f64 v[42:43], v[42:43], -0.5, v[38:39]
	;; [unrolled: 1-line block ×4, first 2 shown]
	v_add_f64 v[36:37], v[36:37], v[8:9]
	v_add_f64 v[77:78], v[20:21], -v[28:29]
	v_add_f64 v[28:29], v[28:29], -v[4:5]
	v_add_f64 v[81:82], v[22:23], -v[26:27]
	v_add_f64 v[107:108], v[24:25], -v[4:5]
	v_add_f64 v[8:9], v[12:13], -v[8:9]
	v_add_f64 v[111:112], v[16:17], -v[0:1]
	v_fma_f64 v[46:47], v[46:47], -0.5, v[32:33]
	v_fma_f64 v[32:33], v[48:49], -0.5, v[32:33]
	;; [unrolled: 1-line block ×4, first 2 shown]
	v_add_f64 v[50:51], v[83:84], v[91:92]
	v_add_f64 v[52:53], v[85:86], v[93:94]
	;; [unrolled: 1-line block ×3, first 2 shown]
	v_add_f64 v[97:98], v[20:21], -v[24:25]
	v_add_f64 v[105:106], v[4:5], -v[24:25]
	;; [unrolled: 1-line block ×4, first 2 shown]
	v_fma_f64 v[99:100], v[56:57], s[14:15], v[40:41]
	v_fma_f64 v[101:102], v[58:59], s[8:9], v[42:43]
	;; [unrolled: 1-line block ×8, first 2 shown]
	v_add_f64 v[20:21], v[62:63], v[20:21]
	v_add_f64 v[22:23], v[64:65], v[22:23]
	;; [unrolled: 1-line block ×4, first 2 shown]
	v_add_f64 v[109:110], v[6:7], -v[26:27]
	v_add_f64 v[38:39], v[26:27], -v[6:7]
	v_add_f64 v[36:37], v[77:78], v[107:108]
	v_add_f64 v[8:9], v[8:9], v[111:112]
	v_fma_f64 v[62:63], v[81:82], s[14:15], v[32:33]
	v_fma_f64 v[32:33], v[81:82], s[8:9], v[32:33]
	;; [unrolled: 1-line block ×4, first 2 shown]
	v_add_f64 v[14:15], v[75:76], v[105:106]
	v_fma_f64 v[75:76], v[97:98], s[8:9], v[34:35]
	v_fma_f64 v[87:88], v[58:59], s[6:7], v[99:100]
	;; [unrolled: 1-line block ×12, first 2 shown]
	v_add_f64 v[20:21], v[20:21], v[24:25]
	v_add_f64 v[22:23], v[22:23], v[26:27]
	;; [unrolled: 1-line block ×4, first 2 shown]
	s_mov_b32 s18, s4
	v_add_f64 v[30:31], v[30:31], v[38:39]
	v_fma_f64 v[26:27], v[66:67], s[6:7], v[32:33]
	v_fma_f64 v[32:33], v[97:98], s[6:7], v[64:65]
	;; [unrolled: 1-line block ×3, first 2 shown]
	s_mov_b32 s17, 0x3fe9e377
	s_mov_b32 s21, 0xbfe9e377
	v_fma_f64 v[60:61], v[52:53], s[4:5], v[87:88]
	v_fma_f64 v[85:86], v[83:84], s[4:5], v[91:92]
	;; [unrolled: 1-line block ×5, first 2 shown]
	v_add_f64 v[52:53], v[79:80], v[109:110]
	v_fma_f64 v[16:17], v[81:82], s[0:1], v[58:59]
	v_fma_f64 v[18:19], v[81:82], s[6:7], v[46:47]
	;; [unrolled: 1-line block ×4, first 2 shown]
	s_mov_b32 s20, s16
	v_fma_f64 v[24:25], v[66:67], s[0:1], v[62:63]
	v_fma_f64 v[46:47], v[28:29], s[6:7], v[75:76]
	;; [unrolled: 1-line block ×4, first 2 shown]
	v_add_f64 v[4:5], v[20:21], v[4:5]
	v_add_f64 v[6:7], v[22:23], v[6:7]
	;; [unrolled: 1-line block ×4, first 2 shown]
	v_and_b32_e32 v71, 0xff, v70
	s_barrier
	v_mul_f64 v[54:55], v[60:61], s[0:1]
	v_mul_f64 v[58:59], v[85:86], s[8:9]
	;; [unrolled: 1-line block ×8, first 2 shown]
	v_fma_f64 v[20:21], v[14:15], s[4:5], v[16:17]
	v_fma_f64 v[66:67], v[14:15], s[4:5], v[18:19]
	;; [unrolled: 1-line block ×7, first 2 shown]
	v_mul_lo_u16 v0, 0xcd, v71
	buffer_gl0_inv
	v_lshl_add_u32 v196, v74, 4, 0
	v_add_f64 v[2:3], v[6:7], v[10:11]
	v_add_f64 v[6:7], v[6:7], -v[10:11]
	v_lshrrev_b16 v24, 11, v0
	v_add_f64 v[0:1], v[4:5], v[12:13]
	v_fma_f64 v[18:19], v[56:57], s[16:17], v[54:55]
	v_fma_f64 v[32:33], v[48:49], s[4:5], v[58:59]
	;; [unrolled: 1-line block ×9, first 2 shown]
	v_add_f64 v[4:5], v[4:5], -v[12:13]
	v_mov_b32_e32 v71, 4
	v_add_f64 v[8:9], v[20:21], v[18:19]
	v_add_f64 v[12:13], v[75:76], v[32:33]
	v_add_f64 v[20:21], v[20:21], -v[18:19]
	v_add_f64 v[10:11], v[14:15], v[22:23]
	v_add_f64 v[22:23], v[14:15], -v[22:23]
	v_add_f64 v[14:15], v[46:47], v[44:45]
	v_add_f64 v[16:17], v[25:26], v[36:37]
	;; [unrolled: 1-line block ×5, first 2 shown]
	v_add_f64 v[31:32], v[75:76], -v[32:33]
	v_add_f64 v[35:36], v[25:26], -v[36:37]
	;; [unrolled: 1-line block ×3, first 2 shown]
	v_and_b32_e32 v25, 0xff, v74
	v_add_f64 v[39:40], v[66:67], -v[38:39]
	v_add_f64 v[37:38], v[54:55], -v[42:43]
	;; [unrolled: 1-line block ×3, first 2 shown]
	v_mul_lo_u16 v26, v24, 10
	v_mul_lo_u16 v45, 0xcd, v25
	v_mad_u32_u24 v44, 0x90, v70, v195
	v_mov_b32_e32 v43, 6
	ds_write_b128 v44, v[0:3]
	ds_write_b128 v44, v[4:7] offset:80
	ds_write_b128 v44, v[8:11] offset:16
	;; [unrolled: 1-line block ×9, first 2 shown]
	v_sub_nc_u16 v25, v70, v26
	v_lshrrev_b16 v26, 11, v45
	s_waitcnt lgkmcnt(0)
	s_barrier
	buffer_gl0_inv
	v_lshlrev_b32_sdwa v45, v43, v25 dst_sel:DWORD dst_unused:UNUSED_PAD src0_sel:DWORD src1_sel:BYTE_0
	v_mul_lo_u16 v8, v26, 10
	s_clause 0x1
	global_load_dwordx4 v[0:3], v45, s[12:13]
	global_load_dwordx4 v[4:7], v45, s[12:13] offset:16
	v_sub_nc_u16 v67, v74, v8
	s_clause 0x1
	global_load_dwordx4 v[8:11], v45, s[12:13] offset:32
	global_load_dwordx4 v[12:15], v45, s[12:13] offset:48
	v_lshlrev_b32_sdwa v25, v71, v25 dst_sel:DWORD dst_unused:UNUSED_PAD src0_sel:DWORD src1_sel:BYTE_0
	v_lshlrev_b32_sdwa v31, v43, v67 dst_sel:DWORD dst_unused:UNUSED_PAD src0_sel:DWORD src1_sel:BYTE_0
	s_clause 0x3
	global_load_dwordx4 v[16:19], v31, s[12:13]
	global_load_dwordx4 v[20:23], v31, s[12:13] offset:16
	global_load_dwordx4 v[27:30], v31, s[12:13] offset:32
	;; [unrolled: 1-line block ×3, first 2 shown]
	ds_read_b128 v[35:38], v195 offset:2720
	ds_read_b128 v[39:42], v195 offset:5440
	;; [unrolled: 1-line block ×7, first 2 shown]
	ds_read_b128 v[63:66], v195
	ds_read_b128 v[75:78], v195 offset:12240
	ds_read_b128 v[79:82], v196
	s_waitcnt vmcnt(0) lgkmcnt(0)
	s_barrier
	buffer_gl0_inv
	v_mul_f64 v[83:84], v[37:38], v[2:3]
	v_mul_f64 v[2:3], v[35:36], v[2:3]
	;; [unrolled: 1-line block ×16, first 2 shown]
	v_fma_f64 v[35:36], v[35:36], v[0:1], v[83:84]
	v_fma_f64 v[0:1], v[37:38], v[0:1], -v[2:3]
	v_fma_f64 v[2:3], v[39:40], v[4:5], v[85:86]
	v_fma_f64 v[4:5], v[41:42], v[4:5], -v[6:7]
	v_fma_f64 v[6:7], v[43:44], v[8:9], v[87:88]
	v_fma_f64 v[37:38], v[47:48], v[12:13], v[89:90]
	v_fma_f64 v[8:9], v[45:46], v[8:9], -v[10:11]
	v_fma_f64 v[10:11], v[49:50], v[12:13], -v[14:15]
	v_fma_f64 v[12:13], v[51:52], v[16:17], v[91:92]
	v_fma_f64 v[14:15], v[53:54], v[16:17], -v[18:19]
	v_fma_f64 v[16:17], v[55:56], v[20:21], v[93:94]
	;; [unrolled: 2-line block ×4, first 2 shown]
	v_fma_f64 v[29:30], v[77:78], v[31:32], -v[33:34]
	v_add_f64 v[47:48], v[63:64], v[35:36]
	v_add_f64 v[49:50], v[65:66], v[0:1]
	v_add_f64 v[43:44], v[35:36], -v[2:3]
	v_add_f64 v[51:52], v[2:3], -v[35:36]
	v_add_f64 v[31:32], v[2:3], v[6:7]
	v_add_f64 v[33:34], v[35:36], v[37:38]
	;; [unrolled: 1-line block ×4, first 2 shown]
	v_add_f64 v[45:46], v[37:38], -v[6:7]
	v_add_f64 v[53:54], v[6:7], -v[37:38]
	;; [unrolled: 1-line block ×5, first 2 shown]
	v_add_f64 v[83:84], v[16:17], v[20:21]
	v_add_f64 v[85:86], v[18:19], v[22:23]
	;; [unrolled: 1-line block ×4, first 2 shown]
	v_add_f64 v[61:62], v[8:9], -v[10:11]
	v_add_f64 v[75:76], v[2:3], -v[6:7]
	v_add_f64 v[0:1], v[0:1], -v[10:11]
	v_add_f64 v[77:78], v[4:5], -v[8:9]
	v_add_f64 v[35:36], v[35:36], -v[37:38]
	v_add_f64 v[91:92], v[81:82], v[14:15]
	v_add_f64 v[93:94], v[79:80], v[12:13]
	v_add_f64 v[95:96], v[14:15], -v[29:30]
	v_add_f64 v[99:100], v[18:19], -v[22:23]
	;; [unrolled: 1-line block ×4, first 2 shown]
	v_fma_f64 v[31:32], v[31:32], -0.5, v[63:64]
	v_fma_f64 v[39:40], v[39:40], -0.5, v[65:66]
	;; [unrolled: 1-line block ×4, first 2 shown]
	v_add_f64 v[12:13], v[12:13], -v[27:28]
	v_add_f64 v[63:64], v[16:17], -v[20:21]
	v_add_f64 v[97:98], v[14:15], -v[18:19]
	v_fma_f64 v[65:66], v[83:84], -0.5, v[79:80]
	v_fma_f64 v[83:84], v[85:86], -0.5, v[81:82]
	;; [unrolled: 1-line block ×4, first 2 shown]
	v_add_f64 v[14:15], v[18:19], -v[14:15]
	v_add_f64 v[105:106], v[27:28], -v[20:21]
	;; [unrolled: 1-line block ×5, first 2 shown]
	v_add_f64 v[43:44], v[43:44], v[45:46]
	v_add_f64 v[45:46], v[51:52], v[53:54]
	;; [unrolled: 1-line block ×8, first 2 shown]
	v_fma_f64 v[57:58], v[0:1], s[8:9], v[31:32]
	v_fma_f64 v[59:60], v[35:36], s[14:15], v[39:40]
	;; [unrolled: 1-line block ×16, first 2 shown]
	v_add_f64 v[48:49], v[101:102], v[105:106]
	v_add_f64 v[55:56], v[103:104], v[107:108]
	;; [unrolled: 1-line block ×8, first 2 shown]
	v_fma_f64 v[14:15], v[77:78], s[0:1], v[57:58]
	v_fma_f64 v[16:17], v[75:76], s[6:7], v[59:60]
	;; [unrolled: 1-line block ×16, first 2 shown]
	v_mov_b32_e32 v64, 0x320
	v_cmp_gt_u32_e64 s0, 50, v70
	v_add_f64 v[0:1], v[2:3], v[37:38]
	v_add_f64 v[2:3], v[4:5], v[10:11]
	;; [unrolled: 1-line block ×4, first 2 shown]
	v_fma_f64 v[4:5], v[43:44], s[4:5], v[14:15]
	v_fma_f64 v[6:7], v[51:52], s[4:5], v[16:17]
	v_fma_f64 v[16:17], v[43:44], s[4:5], v[18:19]
	v_fma_f64 v[18:19], v[51:52], s[4:5], v[31:32]
	v_fma_f64 v[8:9], v[45:46], s[4:5], v[39:40]
	v_fma_f64 v[10:11], v[53:54], s[4:5], v[57:58]
	v_fma_f64 v[12:13], v[45:46], s[4:5], v[33:34]
	v_fma_f64 v[14:15], v[53:54], s[4:5], v[35:36]
	v_fma_f64 v[32:33], v[48:49], s[4:5], v[41:42]
	v_fma_f64 v[34:35], v[97:98], s[4:5], v[59:60]
	v_fma_f64 v[44:45], v[55:56], s[4:5], v[61:62]
	v_fma_f64 v[46:47], v[101:102], s[4:5], v[75:76]
	v_fma_f64 v[48:49], v[48:49], s[4:5], v[65:66]
	v_fma_f64 v[60:61], v[55:56], s[4:5], v[77:78]
	v_fma_f64 v[62:63], v[101:102], s[4:5], v[79:80]
	v_fma_f64 v[50:51], v[97:98], s[4:5], v[81:82]
	v_mul_u32_u24_sdwa v24, v24, v64 dst_sel:DWORD dst_unused:UNUSED_PAD src0_sel:WORD_0 src1_sel:DWORD
	v_mul_u32_u24_sdwa v26, v26, v64 dst_sel:DWORD dst_unused:UNUSED_PAD src0_sel:WORD_0 src1_sel:DWORD
	v_lshlrev_b32_sdwa v27, v71, v67 dst_sel:DWORD dst_unused:UNUSED_PAD src0_sel:DWORD src1_sel:BYTE_0
                                        ; implicit-def: $vgpr30_vgpr31
                                        ; implicit-def: $vgpr42_vgpr43
                                        ; implicit-def: $vgpr38_vgpr39
                                        ; implicit-def: $vgpr54_vgpr55
                                        ; implicit-def: $vgpr58_vgpr59
                                        ; implicit-def: $vgpr66_vgpr67
	v_add3_u32 v24, 0, v24, v25
	v_add3_u32 v25, 0, v26, v27
	ds_write_b128 v24, v[0:3]
	ds_write_b128 v24, v[4:7] offset:160
	ds_write_b128 v24, v[8:11] offset:320
	;; [unrolled: 1-line block ×4, first 2 shown]
	ds_write_b128 v25, v[20:23]
	ds_write_b128 v25, v[32:35] offset:160
	ds_write_b128 v25, v[44:47] offset:320
	;; [unrolled: 1-line block ×4, first 2 shown]
	s_waitcnt lgkmcnt(0)
	s_barrier
	buffer_gl0_inv
                                        ; implicit-def: $vgpr26_vgpr27
	s_and_saveexec_b32 s1, s0
	s_cbranch_execz .LBB0_15
; %bb.14:
	ds_read_b128 v[0:3], v195
	ds_read_b128 v[4:7], v195 offset:800
	ds_read_b128 v[8:11], v195 offset:1600
	;; [unrolled: 1-line block ×16, first 2 shown]
.LBB0_15:
	s_or_b32 exec_lo, exec_lo, s1
	v_lshlrev_b32_e32 v71, 4, v70
	s_waitcnt lgkmcnt(0)
	s_barrier
	buffer_gl0_inv
	s_and_saveexec_b32 s33, s0
	s_cbranch_execz .LBB0_17
; %bb.16:
	v_add_nc_u32_e32 v75, 0xfffffce0, v71
	v_mov_b32_e32 v76, 0
	s_mov_b32 s4, 0xacd6c6b4
	s_mov_b32 s5, 0xbfc7851a
	;; [unrolled: 1-line block ×3, first 2 shown]
	v_cndmask_b32_e64 v75, v75, v71, s0
	s_mov_b32 s31, 0x3fd71e95
	s_mov_b32 s18, 0x370991
	;; [unrolled: 1-line block ×4, first 2 shown]
	v_lshlrev_b64 v[75:76], 4, v[75:76]
	s_mov_b32 s23, 0xbfe0d888
	s_mov_b32 s6, 0x910ea3b9
	;; [unrolled: 1-line block ×5, first 2 shown]
	v_add_co_u32 v117, s0, s12, v75
	v_add_co_ci_u32_e64 v118, s0, s13, v76, s0
	s_mov_b32 s0, 0x7faef3
	s_mov_b32 s1, 0xbfef7484
	;; [unrolled: 1-line block ×3, first 2 shown]
	s_clause 0x1
	global_load_dwordx4 v[77:80], v[117:118], off offset:752
	global_load_dwordx4 v[83:86], v[117:118], off offset:736
	s_mov_b32 s9, 0x3fe7a5f6
	s_mov_b32 s26, 0x6c9a05f6
	;; [unrolled: 1-line block ×31, first 2 shown]
	s_waitcnt vmcnt(1)
	v_mul_f64 v[75:76], v[62:63], v[79:80]
	v_fma_f64 v[75:76], v[60:61], v[77:78], v[75:76]
	v_mul_f64 v[60:61], v[60:61], v[79:80]
	v_fma_f64 v[60:61], v[62:63], v[77:78], -v[60:61]
	s_clause 0x1
	global_load_dwordx4 v[77:80], v[117:118], off offset:768
	global_load_dwordx4 v[87:90], v[117:118], off offset:784
	s_waitcnt vmcnt(1)
	v_mul_f64 v[62:63], v[50:51], v[79:80]
	v_fma_f64 v[62:63], v[48:49], v[77:78], v[62:63]
	v_mul_f64 v[48:49], v[48:49], v[79:80]
	v_add_f64 v[187:188], v[75:76], -v[62:63]
	v_fma_f64 v[77:78], v[50:51], v[77:78], -v[48:49]
	v_mul_f64 v[48:49], v[46:47], v[85:86]
	v_add_f64 v[159:160], v[75:76], v[62:63]
	v_mul_f64 v[199:200], v[187:188], s[26:27]
	v_add_f64 v[191:192], v[60:61], -v[77:78]
	v_fma_f64 v[81:82], v[44:45], v[83:84], v[48:49]
	v_mul_f64 v[44:45], v[44:45], v[85:86]
	v_add_f64 v[157:158], v[60:61], v[77:78]
	v_mul_f64 v[207:208], v[187:188], s[42:43]
	v_mul_f64 v[215:216], v[187:188], s[22:23]
	;; [unrolled: 1-line block ×5, first 2 shown]
	v_fma_f64 v[83:84], v[46:47], v[83:84], -v[44:45]
	s_waitcnt vmcnt(0)
	v_mul_f64 v[44:45], v[66:67], v[89:90]
	v_mul_f64 v[217:218], v[191:192], s[22:23]
	v_mul_f64 v[225:226], v[191:192], s[30:31]
	v_fma_f64 v[79:80], v[64:65], v[87:88], v[44:45]
	v_mul_f64 v[44:45], v[64:65], v[89:90]
	v_add_f64 v[185:186], v[81:82], -v[79:80]
	v_fma_f64 v[64:65], v[66:67], v[87:88], -v[44:45]
	s_clause 0x1
	global_load_dwordx4 v[44:47], v[117:118], off offset:720
	global_load_dwordx4 v[48:51], v[117:118], off offset:704
	v_add_f64 v[155:156], v[81:82], v[79:80]
	v_add_f64 v[153:154], v[83:84], v[64:65]
	v_add_f64 v[183:184], v[83:84], -v[64:65]
	s_waitcnt vmcnt(1)
	v_mul_f64 v[66:67], v[34:35], v[46:47]
	v_fma_f64 v[66:67], v[32:33], v[44:45], v[66:67]
	v_mul_f64 v[32:33], v[32:33], v[46:47]
	v_fma_f64 v[85:86], v[34:35], v[44:45], -v[32:33]
	s_clause 0x1
	global_load_dwordx4 v[32:35], v[117:118], off offset:800
	global_load_dwordx4 v[44:47], v[117:118], off offset:816
	s_waitcnt vmcnt(1)
	v_mul_f64 v[87:88], v[58:59], v[34:35]
	v_mul_f64 v[34:35], v[56:57], v[34:35]
	v_fma_f64 v[87:88], v[56:57], v[32:33], v[87:88]
	v_fma_f64 v[89:90], v[58:59], v[32:33], -v[34:35]
	v_mul_f64 v[32:33], v[22:23], v[50:51]
	v_mul_f64 v[56:57], v[191:192], s[36:37]
	v_add_f64 v[181:182], v[66:67], -v[87:88]
	v_add_f64 v[149:150], v[85:86], v[89:90]
	v_fma_f64 v[95:96], v[20:21], v[48:49], v[32:33]
	v_mul_f64 v[20:21], v[20:21], v[50:51]
	v_add_f64 v[177:178], v[85:86], -v[89:90]
	v_add_f64 v[151:152], v[66:67], v[87:88]
	v_fma_f64 v[97:98], v[22:23], v[48:49], -v[20:21]
	s_waitcnt vmcnt(0)
	v_mul_f64 v[20:21], v[54:55], v[46:47]
	v_mul_f64 v[48:49], v[191:192], s[28:29]
	v_fma_f64 v[91:92], v[52:53], v[44:45], v[20:21]
	v_mul_f64 v[20:21], v[52:53], v[46:47]
	v_mul_f64 v[46:47], v[187:188], s[28:29]
	v_add_f64 v[175:176], v[95:96], -v[91:92]
	v_fma_f64 v[93:94], v[54:55], v[44:45], -v[20:21]
	s_clause 0x1
	global_load_dwordx4 v[20:23], v[117:118], off offset:688
	global_load_dwordx4 v[32:35], v[117:118], off offset:672
	v_add_f64 v[147:148], v[95:96], v[91:92]
	v_mul_f64 v[54:55], v[187:188], s[36:37]
	v_add_f64 v[145:146], v[97:98], v[93:94]
	v_add_f64 v[173:174], v[97:98], -v[93:94]
	s_waitcnt vmcnt(1)
	v_mul_f64 v[44:45], v[18:19], v[22:23]
	v_fma_f64 v[99:100], v[16:17], v[20:21], v[44:45]
	v_mul_f64 v[16:17], v[16:17], v[22:23]
	v_fma_f64 v[101:102], v[18:19], v[20:21], -v[16:17]
	s_clause 0x1
	global_load_dwordx4 v[16:19], v[117:118], off offset:832
	global_load_dwordx4 v[20:23], v[117:118], off offset:848
	s_waitcnt vmcnt(1)
	v_mul_f64 v[44:45], v[38:39], v[18:19]
	v_mul_f64 v[18:19], v[36:37], v[18:19]
	v_fma_f64 v[103:104], v[36:37], v[16:17], v[44:45]
	v_fma_f64 v[105:106], v[38:39], v[16:17], -v[18:19]
	v_mul_f64 v[16:17], v[14:15], v[34:35]
	v_mul_f64 v[38:39], v[187:188], s[52:53]
	v_add_f64 v[171:172], v[99:100], -v[103:104]
	v_add_f64 v[137:138], v[101:102], v[105:106]
	v_fma_f64 v[111:112], v[12:13], v[32:33], v[16:17]
	v_mul_f64 v[12:13], v[12:13], v[34:35]
	v_add_f64 v[169:170], v[101:102], -v[105:106]
	v_add_f64 v[139:140], v[99:100], v[103:104]
	v_fma_f64 v[113:114], v[14:15], v[32:33], -v[12:13]
	s_waitcnt vmcnt(0)
	v_mul_f64 v[12:13], v[42:43], v[22:23]
	v_fma_f64 v[107:108], v[40:41], v[20:21], v[12:13]
	v_mul_f64 v[12:13], v[40:41], v[22:23]
	v_mul_f64 v[40:41], v[191:192], s[52:53]
	v_add_f64 v[167:168], v[111:112], -v[107:108]
	v_fma_f64 v[109:110], v[42:43], v[20:21], -v[12:13]
	s_clause 0x1
	global_load_dwordx4 v[12:15], v[117:118], off offset:656
	global_load_dwordx4 v[16:19], v[117:118], off offset:640
	v_add_f64 v[135:136], v[111:112], v[107:108]
	v_add_f64 v[133:134], v[113:114], v[109:110]
	v_add_f64 v[163:164], v[113:114], -v[109:110]
	s_waitcnt vmcnt(1)
	v_mul_f64 v[20:21], v[10:11], v[14:15]
	v_fma_f64 v[115:116], v[8:9], v[12:13], v[20:21]
	v_mul_f64 v[8:9], v[8:9], v[14:15]
	v_fma_f64 v[125:126], v[10:11], v[12:13], -v[8:9]
	s_clause 0x1
	global_load_dwordx4 v[8:11], v[117:118], off offset:864
	global_load_dwordx4 v[12:15], v[117:118], off offset:880
	s_waitcnt vmcnt(1)
	v_mul_f64 v[20:21], v[30:31], v[10:11]
	v_mul_f64 v[10:11], v[28:29], v[10:11]
	v_fma_f64 v[117:118], v[28:29], v[8:9], v[20:21]
	v_fma_f64 v[119:120], v[30:31], v[8:9], -v[10:11]
	v_mul_f64 v[8:9], v[6:7], v[18:19]
	v_add_f64 v[143:144], v[115:116], -v[117:118]
	v_add_f64 v[127:128], v[125:126], v[119:120]
	v_fma_f64 v[129:130], v[4:5], v[16:17], v[8:9]
	v_mul_f64 v[4:5], v[4:5], v[18:19]
	v_add_f64 v[161:162], v[125:126], -v[119:120]
	v_add_f64 v[131:132], v[115:116], v[117:118]
	v_mul_f64 v[10:11], v[143:144], s[30:31]
	v_fma_f64 v[141:142], v[6:7], v[16:17], -v[4:5]
	s_waitcnt vmcnt(0)
	v_mul_f64 v[4:5], v[26:27], v[14:15]
	v_fma_f64 v[6:7], v[127:128], s[18:19], v[10:11]
	v_fma_f64 v[10:11], v[127:128], s[18:19], -v[10:11]
	v_fma_f64 v[121:122], v[24:25], v[12:13], v[4:5]
	v_mul_f64 v[4:5], v[24:25], v[14:15]
	v_mul_f64 v[14:15], v[161:162], s[30:31]
	v_add_f64 v[189:190], v[129:130], -v[121:122]
	v_fma_f64 v[123:124], v[26:27], v[12:13], -v[4:5]
	v_add_f64 v[179:180], v[129:130], v[121:122]
	v_fma_f64 v[16:17], v[131:132], s[18:19], -v[14:15]
	v_add_f64 v[129:130], v[0:1], v[129:130]
	v_mul_f64 v[8:9], v[189:190], s[4:5]
	v_add_f64 v[165:166], v[141:142], v[123:124]
	v_add_f64 v[193:194], v[141:142], -v[123:124]
	v_add_f64 v[141:142], v[2:3], v[141:142]
	v_add_f64 v[115:116], v[129:130], v[115:116]
	v_fma_f64 v[4:5], v[165:166], s[0:1], v[8:9]
	v_mul_f64 v[12:13], v[193:194], s[4:5]
	v_fma_f64 v[8:9], v[165:166], s[0:1], -v[8:9]
	v_add_f64 v[125:126], v[141:142], v[125:126]
	v_add_f64 v[111:112], v[115:116], v[111:112]
	;; [unrolled: 1-line block ×7, first 2 shown]
	v_fma_f64 v[6:7], v[179:180], s[0:1], -v[12:13]
	v_add_f64 v[8:9], v[10:11], v[8:9]
	v_fma_f64 v[10:11], v[179:180], s[0:1], v[12:13]
	v_fma_f64 v[12:13], v[131:132], s[18:19], v[14:15]
	;; [unrolled: 1-line block ×3, first 2 shown]
	v_add_f64 v[101:102], v[113:114], v[101:102]
	v_add_f64 v[95:96], v[99:100], v[95:96]
	v_add_f64 v[6:7], v[0:1], v[6:7]
	v_add_f64 v[10:11], v[0:1], v[10:11]
	v_add_f64 v[97:98], v[101:102], v[97:98]
	v_add_f64 v[66:67], v[95:96], v[66:67]
	v_add_f64 v[6:7], v[16:17], v[6:7]
	v_mul_f64 v[16:17], v[167:168], s[22:23]
	v_add_f64 v[10:11], v[12:13], v[10:11]
	v_add_f64 v[85:86], v[97:98], v[85:86]
	;; [unrolled: 1-line block ×3, first 2 shown]
	v_fma_f64 v[18:19], v[133:134], s[6:7], v[16:17]
	v_fma_f64 v[12:13], v[133:134], s[6:7], -v[16:17]
	v_mul_f64 v[16:17], v[189:190], s[22:23]
	v_add_f64 v[83:84], v[85:86], v[83:84]
	v_add_f64 v[66:67], v[66:67], v[75:76]
	;; [unrolled: 1-line block ×3, first 2 shown]
	v_mul_f64 v[18:19], v[163:164], s[22:23]
	v_add_f64 v[8:9], v[12:13], v[8:9]
	v_add_f64 v[60:61], v[83:84], v[60:61]
	;; [unrolled: 1-line block ×3, first 2 shown]
	v_fma_f64 v[20:21], v[135:136], s[6:7], -v[18:19]
	v_fma_f64 v[12:13], v[135:136], s[6:7], v[18:19]
	v_mul_f64 v[18:19], v[143:144], s[36:37]
	v_add_f64 v[60:61], v[60:61], v[77:78]
	v_add_f64 v[62:63], v[62:63], v[79:80]
	;; [unrolled: 1-line block ×3, first 2 shown]
	v_mul_f64 v[20:21], v[171:172], s[42:43]
	v_add_f64 v[10:11], v[12:13], v[10:11]
	v_add_f64 v[60:61], v[60:61], v[64:65]
	;; [unrolled: 1-line block ×3, first 2 shown]
	v_fma_f64 v[22:23], v[137:138], s[8:9], v[20:21]
	v_fma_f64 v[12:13], v[137:138], s[8:9], -v[20:21]
	v_mul_f64 v[20:21], v[193:194], s[22:23]
	v_add_f64 v[60:61], v[60:61], v[89:90]
	v_add_f64 v[62:63], v[62:63], v[91:92]
	;; [unrolled: 1-line block ×3, first 2 shown]
	v_mul_f64 v[22:23], v[169:170], s[42:43]
	v_add_f64 v[8:9], v[12:13], v[8:9]
	v_add_f64 v[60:61], v[60:61], v[93:94]
	;; [unrolled: 1-line block ×3, first 2 shown]
	v_fma_f64 v[24:25], v[139:140], s[8:9], -v[22:23]
	v_fma_f64 v[12:13], v[139:140], s[8:9], v[22:23]
	v_mul_f64 v[22:23], v[161:162], s[36:37]
	v_add_f64 v[60:61], v[60:61], v[105:106]
	v_add_f64 v[62:63], v[62:63], v[107:108]
	;; [unrolled: 1-line block ×3, first 2 shown]
	v_mul_f64 v[24:25], v[175:176], s[26:27]
	v_add_f64 v[10:11], v[12:13], v[10:11]
	v_add_f64 v[60:61], v[60:61], v[109:110]
	;; [unrolled: 1-line block ×3, first 2 shown]
	v_fma_f64 v[26:27], v[145:146], s[14:15], v[24:25]
	v_fma_f64 v[12:13], v[145:146], s[14:15], -v[24:25]
	v_fma_f64 v[24:25], v[131:132], s[16:17], -v[22:23]
	v_add_f64 v[60:61], v[60:61], v[119:120]
	v_add_f64 v[4:5], v[26:27], v[4:5]
	v_mul_f64 v[26:27], v[173:174], s[26:27]
	v_add_f64 v[8:9], v[12:13], v[8:9]
	v_add_f64 v[62:63], v[60:61], v[123:124]
	;; [unrolled: 1-line block ×3, first 2 shown]
	v_fma_f64 v[28:29], v[147:148], s[14:15], -v[26:27]
	v_fma_f64 v[12:13], v[147:148], s[14:15], v[26:27]
	v_add_f64 v[6:7], v[28:29], v[6:7]
	v_mul_f64 v[28:29], v[181:182], s[36:37]
	v_add_f64 v[10:11], v[12:13], v[10:11]
	v_fma_f64 v[30:31], v[149:150], s[16:17], v[28:29]
	v_fma_f64 v[12:13], v[149:150], s[16:17], -v[28:29]
	v_add_f64 v[4:5], v[30:31], v[4:5]
	v_mul_f64 v[30:31], v[177:178], s[36:37]
	v_add_f64 v[8:9], v[12:13], v[8:9]
	v_fma_f64 v[32:33], v[151:152], s[16:17], -v[30:31]
	v_fma_f64 v[12:13], v[151:152], s[16:17], v[30:31]
	v_add_f64 v[6:7], v[32:33], v[6:7]
	v_mul_f64 v[32:33], v[185:186], s[28:29]
	v_add_f64 v[10:11], v[12:13], v[10:11]
	v_fma_f64 v[34:35], v[153:154], s[20:21], v[32:33]
	v_fma_f64 v[12:13], v[153:154], s[20:21], -v[32:33]
	v_add_f64 v[4:5], v[34:35], v[4:5]
	v_mul_f64 v[34:35], v[183:184], s[28:29]
	v_add_f64 v[8:9], v[12:13], v[8:9]
	v_fma_f64 v[12:13], v[155:156], s[20:21], v[34:35]
	v_fma_f64 v[36:37], v[155:156], s[20:21], -v[34:35]
	v_add_f64 v[12:13], v[12:13], v[10:11]
	v_fma_f64 v[10:11], v[157:158], s[24:25], -v[38:39]
	v_add_f64 v[36:37], v[36:37], v[6:7]
	v_fma_f64 v[6:7], v[157:158], s[24:25], v[38:39]
	v_add_f64 v[10:11], v[10:11], v[8:9]
	v_add_f64 v[8:9], v[14:15], v[12:13]
	v_fma_f64 v[12:13], v[165:166], s[6:7], v[16:17]
	v_fma_f64 v[14:15], v[127:128], s[16:17], v[18:19]
	v_fma_f64 v[16:17], v[165:166], s[6:7], -v[16:17]
	v_fma_f64 v[18:19], v[127:128], s[16:17], -v[18:19]
	v_add_f64 v[6:7], v[6:7], v[4:5]
	v_fma_f64 v[4:5], v[159:160], s[24:25], -v[40:41]
	v_add_f64 v[12:13], v[2:3], v[12:13]
	v_add_f64 v[16:17], v[2:3], v[16:17]
	;; [unrolled: 1-line block ×4, first 2 shown]
	v_fma_f64 v[14:15], v[179:180], s[6:7], -v[20:21]
	v_add_f64 v[16:17], v[18:19], v[16:17]
	v_fma_f64 v[18:19], v[179:180], s[6:7], v[20:21]
	v_fma_f64 v[20:21], v[131:132], s[16:17], v[22:23]
	;; [unrolled: 1-line block ×3, first 2 shown]
	v_add_f64 v[14:15], v[0:1], v[14:15]
	v_add_f64 v[18:19], v[0:1], v[18:19]
	v_add_f64 v[14:15], v[24:25], v[14:15]
	v_mul_f64 v[24:25], v[167:168], s[34:35]
	v_add_f64 v[18:19], v[20:21], v[18:19]
	v_fma_f64 v[26:27], v[133:134], s[24:25], v[24:25]
	v_fma_f64 v[20:21], v[133:134], s[24:25], -v[24:25]
	v_mul_f64 v[24:25], v[189:190], s[26:27]
	v_add_f64 v[12:13], v[26:27], v[12:13]
	v_mul_f64 v[26:27], v[163:164], s[34:35]
	v_add_f64 v[16:17], v[20:21], v[16:17]
	v_fma_f64 v[28:29], v[135:136], s[24:25], -v[26:27]
	v_fma_f64 v[20:21], v[135:136], s[24:25], v[26:27]
	v_mul_f64 v[26:27], v[143:144], s[46:47]
	v_add_f64 v[14:15], v[28:29], v[14:15]
	v_mul_f64 v[28:29], v[171:172], s[50:51]
	v_add_f64 v[18:19], v[20:21], v[18:19]
	v_fma_f64 v[30:31], v[137:138], s[14:15], v[28:29]
	v_fma_f64 v[20:21], v[137:138], s[14:15], -v[28:29]
	v_mul_f64 v[28:29], v[193:194], s[26:27]
	v_add_f64 v[12:13], v[30:31], v[12:13]
	v_mul_f64 v[30:31], v[169:170], s[50:51]
	v_add_f64 v[16:17], v[20:21], v[16:17]
	v_fma_f64 v[32:33], v[139:140], s[14:15], -v[30:31]
	v_fma_f64 v[20:21], v[139:140], s[14:15], v[30:31]
	v_mul_f64 v[30:31], v[161:162], s[46:47]
	v_add_f64 v[14:15], v[32:33], v[14:15]
	v_mul_f64 v[32:33], v[175:176], s[38:39]
	v_add_f64 v[18:19], v[20:21], v[18:19]
	v_fma_f64 v[34:35], v[145:146], s[18:19], v[32:33]
	v_fma_f64 v[20:21], v[145:146], s[18:19], -v[32:33]
	v_fma_f64 v[32:33], v[131:132], s[20:21], -v[30:31]
	v_add_f64 v[12:13], v[34:35], v[12:13]
	v_mul_f64 v[34:35], v[173:174], s[38:39]
	v_add_f64 v[16:17], v[20:21], v[16:17]
	v_fma_f64 v[36:37], v[147:148], s[18:19], -v[34:35]
	v_fma_f64 v[20:21], v[147:148], s[18:19], v[34:35]
	v_add_f64 v[14:15], v[36:37], v[14:15]
	v_mul_f64 v[36:37], v[181:182], s[4:5]
	v_add_f64 v[18:19], v[20:21], v[18:19]
	v_fma_f64 v[38:39], v[149:150], s[0:1], v[36:37]
	v_fma_f64 v[20:21], v[149:150], s[0:1], -v[36:37]
	v_add_f64 v[12:13], v[38:39], v[12:13]
	v_mul_f64 v[38:39], v[177:178], s[4:5]
	v_add_f64 v[16:17], v[20:21], v[16:17]
	v_fma_f64 v[40:41], v[151:152], s[0:1], -v[38:39]
	v_fma_f64 v[20:21], v[151:152], s[0:1], v[38:39]
	v_add_f64 v[14:15], v[40:41], v[14:15]
	v_mul_f64 v[40:41], v[185:186], s[42:43]
	v_add_f64 v[18:19], v[20:21], v[18:19]
	v_fma_f64 v[42:43], v[153:154], s[8:9], v[40:41]
	v_fma_f64 v[20:21], v[153:154], s[8:9], -v[40:41]
	v_add_f64 v[12:13], v[42:43], v[12:13]
	v_mul_f64 v[42:43], v[183:184], s[42:43]
	v_add_f64 v[16:17], v[20:21], v[16:17]
	v_fma_f64 v[20:21], v[155:156], s[8:9], v[42:43]
	v_fma_f64 v[44:45], v[155:156], s[8:9], -v[42:43]
	v_add_f64 v[20:21], v[20:21], v[18:19]
	v_fma_f64 v[18:19], v[157:158], s[20:21], -v[46:47]
	v_add_f64 v[44:45], v[44:45], v[14:15]
	v_fma_f64 v[14:15], v[157:158], s[20:21], v[46:47]
	v_add_f64 v[18:19], v[18:19], v[16:17]
	v_add_f64 v[16:17], v[22:23], v[20:21]
	v_fma_f64 v[20:21], v[165:166], s[14:15], v[24:25]
	v_fma_f64 v[22:23], v[127:128], s[20:21], v[26:27]
	v_fma_f64 v[24:25], v[165:166], s[14:15], -v[24:25]
	v_fma_f64 v[26:27], v[127:128], s[20:21], -v[26:27]
	v_add_f64 v[14:15], v[14:15], v[12:13]
	v_fma_f64 v[12:13], v[159:160], s[20:21], -v[48:49]
	v_add_f64 v[20:21], v[2:3], v[20:21]
	v_add_f64 v[24:25], v[2:3], v[24:25]
	;; [unrolled: 1-line block ×4, first 2 shown]
	v_fma_f64 v[22:23], v[179:180], s[14:15], -v[28:29]
	v_add_f64 v[24:25], v[26:27], v[24:25]
	v_fma_f64 v[26:27], v[179:180], s[14:15], v[28:29]
	v_fma_f64 v[28:29], v[131:132], s[20:21], v[30:31]
	;; [unrolled: 1-line block ×3, first 2 shown]
	v_add_f64 v[22:23], v[0:1], v[22:23]
	v_add_f64 v[26:27], v[0:1], v[26:27]
	;; [unrolled: 1-line block ×3, first 2 shown]
	v_mul_f64 v[32:33], v[167:168], s[38:39]
	v_add_f64 v[26:27], v[28:29], v[26:27]
	v_fma_f64 v[34:35], v[133:134], s[18:19], v[32:33]
	v_fma_f64 v[28:29], v[133:134], s[18:19], -v[32:33]
	v_mul_f64 v[32:33], v[189:190], s[28:29]
	v_add_f64 v[20:21], v[34:35], v[20:21]
	v_mul_f64 v[34:35], v[163:164], s[38:39]
	v_add_f64 v[24:25], v[28:29], v[24:25]
	v_fma_f64 v[36:37], v[135:136], s[18:19], -v[34:35]
	v_fma_f64 v[28:29], v[135:136], s[18:19], v[34:35]
	v_mul_f64 v[34:35], v[143:144], s[48:49]
	v_add_f64 v[22:23], v[36:37], v[22:23]
	v_mul_f64 v[36:37], v[171:172], s[22:23]
	v_add_f64 v[26:27], v[28:29], v[26:27]
	v_fma_f64 v[38:39], v[137:138], s[6:7], v[36:37]
	v_fma_f64 v[28:29], v[137:138], s[6:7], -v[36:37]
	v_mul_f64 v[36:37], v[193:194], s[28:29]
	v_add_f64 v[20:21], v[38:39], v[20:21]
	v_mul_f64 v[38:39], v[169:170], s[22:23]
	v_add_f64 v[24:25], v[28:29], v[24:25]
	v_fma_f64 v[40:41], v[139:140], s[6:7], -v[38:39]
	v_fma_f64 v[28:29], v[139:140], s[6:7], v[38:39]
	v_mul_f64 v[38:39], v[161:162], s[48:49]
	v_add_f64 v[22:23], v[40:41], v[22:23]
	v_mul_f64 v[40:41], v[175:176], s[52:53]
	v_add_f64 v[26:27], v[28:29], v[26:27]
	v_fma_f64 v[42:43], v[145:146], s[24:25], v[40:41]
	v_fma_f64 v[28:29], v[145:146], s[24:25], -v[40:41]
	v_fma_f64 v[40:41], v[131:132], s[6:7], -v[38:39]
	v_add_f64 v[20:21], v[42:43], v[20:21]
	v_mul_f64 v[42:43], v[173:174], s[52:53]
	v_add_f64 v[24:25], v[28:29], v[24:25]
	v_fma_f64 v[44:45], v[147:148], s[24:25], -v[42:43]
	v_fma_f64 v[28:29], v[147:148], s[24:25], v[42:43]
	v_add_f64 v[22:23], v[44:45], v[22:23]
	v_mul_f64 v[44:45], v[181:182], s[40:41]
	v_add_f64 v[26:27], v[28:29], v[26:27]
	v_fma_f64 v[46:47], v[149:150], s[8:9], v[44:45]
	v_fma_f64 v[28:29], v[149:150], s[8:9], -v[44:45]
	v_add_f64 v[20:21], v[46:47], v[20:21]
	v_mul_f64 v[46:47], v[177:178], s[40:41]
	v_add_f64 v[24:25], v[28:29], v[24:25]
	v_fma_f64 v[48:49], v[151:152], s[8:9], -v[46:47]
	v_fma_f64 v[28:29], v[151:152], s[8:9], v[46:47]
	v_add_f64 v[22:23], v[48:49], v[22:23]
	v_mul_f64 v[48:49], v[185:186], s[4:5]
	v_add_f64 v[26:27], v[28:29], v[26:27]
	v_fma_f64 v[50:51], v[153:154], s[0:1], v[48:49]
	v_fma_f64 v[28:29], v[153:154], s[0:1], -v[48:49]
	v_add_f64 v[20:21], v[50:51], v[20:21]
	v_mul_f64 v[50:51], v[183:184], s[4:5]
	v_add_f64 v[24:25], v[28:29], v[24:25]
	v_fma_f64 v[28:29], v[155:156], s[0:1], v[50:51]
	v_fma_f64 v[52:53], v[155:156], s[0:1], -v[50:51]
	v_add_f64 v[28:29], v[28:29], v[26:27]
	v_fma_f64 v[26:27], v[157:158], s[16:17], -v[54:55]
	v_add_f64 v[52:53], v[52:53], v[22:23]
	v_fma_f64 v[22:23], v[157:158], s[16:17], v[54:55]
	v_add_f64 v[26:27], v[26:27], v[24:25]
	v_add_f64 v[24:25], v[30:31], v[28:29]
	v_fma_f64 v[28:29], v[165:166], s[20:21], v[32:33]
	v_fma_f64 v[30:31], v[127:128], s[6:7], v[34:35]
	v_fma_f64 v[32:33], v[165:166], s[20:21], -v[32:33]
	v_fma_f64 v[34:35], v[127:128], s[6:7], -v[34:35]
	v_add_f64 v[22:23], v[22:23], v[20:21]
	v_fma_f64 v[20:21], v[159:160], s[16:17], -v[56:57]
	v_add_f64 v[28:29], v[2:3], v[28:29]
	v_add_f64 v[32:33], v[2:3], v[32:33]
	;; [unrolled: 1-line block ×4, first 2 shown]
	v_fma_f64 v[30:31], v[179:180], s[20:21], -v[36:37]
	v_add_f64 v[32:33], v[34:35], v[32:33]
	v_fma_f64 v[34:35], v[179:180], s[20:21], v[36:37]
	v_fma_f64 v[36:37], v[131:132], s[6:7], v[38:39]
	;; [unrolled: 1-line block ×3, first 2 shown]
	v_add_f64 v[30:31], v[0:1], v[30:31]
	v_add_f64 v[34:35], v[0:1], v[34:35]
	;; [unrolled: 1-line block ×3, first 2 shown]
	v_mul_f64 v[40:41], v[167:168], s[42:43]
	v_add_f64 v[34:35], v[36:37], v[34:35]
	v_fma_f64 v[42:43], v[133:134], s[8:9], v[40:41]
	v_fma_f64 v[36:37], v[133:134], s[8:9], -v[40:41]
	v_mul_f64 v[40:41], v[189:190], s[34:35]
	v_add_f64 v[28:29], v[42:43], v[28:29]
	v_mul_f64 v[42:43], v[163:164], s[42:43]
	v_add_f64 v[32:33], v[36:37], v[32:33]
	v_fma_f64 v[44:45], v[135:136], s[8:9], -v[42:43]
	v_fma_f64 v[36:37], v[135:136], s[8:9], v[42:43]
	v_mul_f64 v[42:43], v[143:144], s[4:5]
	v_add_f64 v[30:31], v[44:45], v[30:31]
	v_mul_f64 v[44:45], v[171:172], s[44:45]
	v_add_f64 v[34:35], v[36:37], v[34:35]
	v_fma_f64 v[46:47], v[137:138], s[16:17], v[44:45]
	v_fma_f64 v[36:37], v[137:138], s[16:17], -v[44:45]
	v_mul_f64 v[44:45], v[193:194], s[34:35]
	v_add_f64 v[28:29], v[46:47], v[28:29]
	v_mul_f64 v[46:47], v[169:170], s[44:45]
	v_add_f64 v[32:33], v[36:37], v[32:33]
	v_fma_f64 v[48:49], v[139:140], s[16:17], -v[46:47]
	v_fma_f64 v[36:37], v[139:140], s[16:17], v[46:47]
	v_mul_f64 v[46:47], v[161:162], s[4:5]
	v_add_f64 v[30:31], v[48:49], v[30:31]
	v_mul_f64 v[48:49], v[175:176], s[4:5]
	v_add_f64 v[34:35], v[36:37], v[34:35]
	v_fma_f64 v[50:51], v[145:146], s[0:1], v[48:49]
	v_fma_f64 v[36:37], v[145:146], s[0:1], -v[48:49]
	v_fma_f64 v[48:49], v[131:132], s[0:1], -v[46:47]
	v_add_f64 v[28:29], v[50:51], v[28:29]
	v_mul_f64 v[50:51], v[173:174], s[4:5]
	v_add_f64 v[32:33], v[36:37], v[32:33]
	v_fma_f64 v[52:53], v[147:148], s[0:1], -v[50:51]
	v_fma_f64 v[36:37], v[147:148], s[0:1], v[50:51]
	v_add_f64 v[30:31], v[52:53], v[30:31]
	v_mul_f64 v[52:53], v[181:182], s[52:53]
	v_add_f64 v[34:35], v[36:37], v[34:35]
	v_fma_f64 v[54:55], v[149:150], s[24:25], v[52:53]
	v_fma_f64 v[36:37], v[149:150], s[24:25], -v[52:53]
	v_add_f64 v[28:29], v[54:55], v[28:29]
	v_mul_f64 v[54:55], v[177:178], s[52:53]
	v_add_f64 v[32:33], v[36:37], v[32:33]
	v_fma_f64 v[56:57], v[151:152], s[24:25], -v[54:55]
	v_fma_f64 v[36:37], v[151:152], s[24:25], v[54:55]
	v_add_f64 v[30:31], v[56:57], v[30:31]
	v_mul_f64 v[56:57], v[185:186], s[38:39]
	v_add_f64 v[34:35], v[36:37], v[34:35]
	v_fma_f64 v[58:59], v[153:154], s[18:19], v[56:57]
	v_fma_f64 v[36:37], v[153:154], s[18:19], -v[56:57]
	v_add_f64 v[28:29], v[58:59], v[28:29]
	v_mul_f64 v[58:59], v[183:184], s[38:39]
	v_add_f64 v[32:33], v[36:37], v[32:33]
	v_fma_f64 v[36:37], v[155:156], s[18:19], v[58:59]
	v_fma_f64 v[197:198], v[155:156], s[18:19], -v[58:59]
	v_add_f64 v[36:37], v[36:37], v[34:35]
	v_fma_f64 v[34:35], v[157:158], s[14:15], -v[199:200]
	v_add_f64 v[197:198], v[197:198], v[30:31]
	v_fma_f64 v[30:31], v[157:158], s[14:15], v[199:200]
	v_add_f64 v[34:35], v[34:35], v[32:33]
	v_add_f64 v[32:33], v[38:39], v[36:37]
	v_fma_f64 v[36:37], v[165:166], s[24:25], v[40:41]
	v_fma_f64 v[38:39], v[127:128], s[0:1], v[42:43]
	v_fma_f64 v[40:41], v[165:166], s[24:25], -v[40:41]
	v_fma_f64 v[42:43], v[127:128], s[0:1], -v[42:43]
	v_add_f64 v[30:31], v[30:31], v[28:29]
	v_fma_f64 v[28:29], v[159:160], s[14:15], -v[201:202]
	v_add_f64 v[36:37], v[2:3], v[36:37]
	v_add_f64 v[40:41], v[2:3], v[40:41]
	;; [unrolled: 1-line block ×4, first 2 shown]
	v_fma_f64 v[38:39], v[179:180], s[24:25], -v[44:45]
	v_add_f64 v[40:41], v[42:43], v[40:41]
	v_fma_f64 v[42:43], v[179:180], s[24:25], v[44:45]
	v_fma_f64 v[44:45], v[131:132], s[0:1], v[46:47]
	;; [unrolled: 1-line block ×3, first 2 shown]
	v_add_f64 v[38:39], v[0:1], v[38:39]
	v_add_f64 v[42:43], v[0:1], v[42:43]
	;; [unrolled: 1-line block ×3, first 2 shown]
	v_mul_f64 v[48:49], v[167:168], s[46:47]
	v_add_f64 v[42:43], v[44:45], v[42:43]
	v_fma_f64 v[50:51], v[133:134], s[20:21], v[48:49]
	v_fma_f64 v[44:45], v[133:134], s[20:21], -v[48:49]
	v_mul_f64 v[48:49], v[189:190], s[44:45]
	v_add_f64 v[36:37], v[50:51], v[36:37]
	v_mul_f64 v[50:51], v[163:164], s[46:47]
	v_add_f64 v[40:41], v[44:45], v[40:41]
	v_fma_f64 v[52:53], v[135:136], s[20:21], -v[50:51]
	v_fma_f64 v[44:45], v[135:136], s[20:21], v[50:51]
	v_mul_f64 v[50:51], v[143:144], s[26:27]
	v_add_f64 v[38:39], v[52:53], v[38:39]
	v_mul_f64 v[52:53], v[171:172], s[30:31]
	v_add_f64 v[42:43], v[44:45], v[42:43]
	v_fma_f64 v[54:55], v[137:138], s[18:19], v[52:53]
	v_fma_f64 v[44:45], v[137:138], s[18:19], -v[52:53]
	v_mul_f64 v[52:53], v[193:194], s[44:45]
	v_add_f64 v[36:37], v[54:55], v[36:37]
	v_mul_f64 v[54:55], v[169:170], s[30:31]
	v_add_f64 v[40:41], v[44:45], v[40:41]
	v_fma_f64 v[56:57], v[139:140], s[18:19], -v[54:55]
	v_fma_f64 v[44:45], v[139:140], s[18:19], v[54:55]
	v_mul_f64 v[54:55], v[161:162], s[26:27]
	v_add_f64 v[38:39], v[56:57], v[38:39]
	v_mul_f64 v[56:57], v[175:176], s[44:45]
	v_add_f64 v[42:43], v[44:45], v[42:43]
	v_fma_f64 v[58:59], v[145:146], s[16:17], v[56:57]
	v_fma_f64 v[44:45], v[145:146], s[16:17], -v[56:57]
	v_fma_f64 v[56:57], v[131:132], s[14:15], -v[54:55]
	v_add_f64 v[36:37], v[58:59], v[36:37]
	v_mul_f64 v[58:59], v[173:174], s[44:45]
	v_add_f64 v[40:41], v[44:45], v[40:41]
	v_fma_f64 v[197:198], v[147:148], s[16:17], -v[58:59]
	v_fma_f64 v[44:45], v[147:148], s[16:17], v[58:59]
	v_add_f64 v[38:39], v[197:198], v[38:39]
	v_mul_f64 v[197:198], v[181:182], s[22:23]
	v_add_f64 v[42:43], v[44:45], v[42:43]
	v_fma_f64 v[199:200], v[149:150], s[6:7], v[197:198]
	v_fma_f64 v[44:45], v[149:150], s[6:7], -v[197:198]
	v_add_f64 v[36:37], v[199:200], v[36:37]
	v_mul_f64 v[199:200], v[177:178], s[22:23]
	v_add_f64 v[40:41], v[44:45], v[40:41]
	v_fma_f64 v[201:202], v[151:152], s[6:7], -v[199:200]
	v_fma_f64 v[44:45], v[151:152], s[6:7], v[199:200]
	v_add_f64 v[38:39], v[201:202], v[38:39]
	v_mul_f64 v[201:202], v[185:186], s[50:51]
	v_add_f64 v[42:43], v[44:45], v[42:43]
	v_fma_f64 v[203:204], v[153:154], s[14:15], v[201:202]
	v_fma_f64 v[44:45], v[153:154], s[14:15], -v[201:202]
	v_add_f64 v[36:37], v[203:204], v[36:37]
	v_mul_f64 v[203:204], v[183:184], s[50:51]
	v_add_f64 v[40:41], v[44:45], v[40:41]
	s_mov_b32 s51, 0x3fc7851a
	s_mov_b32 s50, s4
	v_fma_f64 v[44:45], v[155:156], s[14:15], v[203:204]
	v_fma_f64 v[205:206], v[155:156], s[14:15], -v[203:204]
	v_add_f64 v[44:45], v[44:45], v[42:43]
	v_fma_f64 v[42:43], v[157:158], s[8:9], -v[207:208]
	v_add_f64 v[205:206], v[205:206], v[38:39]
	v_fma_f64 v[38:39], v[157:158], s[8:9], v[207:208]
	v_add_f64 v[42:43], v[42:43], v[40:41]
	v_add_f64 v[40:41], v[46:47], v[44:45]
	v_fma_f64 v[44:45], v[165:166], s[16:17], v[48:49]
	v_fma_f64 v[46:47], v[127:128], s[14:15], v[50:51]
	v_add_f64 v[38:39], v[38:39], v[36:37]
	v_fma_f64 v[36:37], v[159:160], s[8:9], -v[209:210]
	v_fma_f64 v[48:49], v[165:166], s[16:17], -v[48:49]
	;; [unrolled: 1-line block ×3, first 2 shown]
	v_add_f64 v[44:45], v[2:3], v[44:45]
	v_add_f64 v[36:37], v[36:37], v[205:206]
	;; [unrolled: 1-line block ×4, first 2 shown]
	v_fma_f64 v[46:47], v[179:180], s[16:17], -v[52:53]
	v_add_f64 v[48:49], v[50:51], v[48:49]
	v_add_f64 v[46:47], v[0:1], v[46:47]
	;; [unrolled: 1-line block ×3, first 2 shown]
	v_mul_f64 v[56:57], v[167:168], s[50:51]
	v_fma_f64 v[58:59], v[133:134], s[0:1], v[56:57]
	v_fma_f64 v[50:51], v[133:134], s[0:1], -v[56:57]
	v_mul_f64 v[56:57], v[189:190], s[40:41]
	v_mul_f64 v[189:190], v[189:190], s[38:39]
	v_add_f64 v[44:45], v[58:59], v[44:45]
	v_mul_f64 v[58:59], v[163:164], s[50:51]
	v_add_f64 v[48:49], v[50:51], v[48:49]
	v_fma_f64 v[197:198], v[135:136], s[0:1], -v[58:59]
	v_add_f64 v[46:47], v[197:198], v[46:47]
	v_mul_f64 v[197:198], v[171:172], s[46:47]
	v_fma_f64 v[199:200], v[137:138], s[20:21], v[197:198]
	v_fma_f64 v[50:51], v[137:138], s[20:21], -v[197:198]
	v_mul_f64 v[197:198], v[167:168], s[26:27]
	v_add_f64 v[44:45], v[199:200], v[44:45]
	v_mul_f64 v[199:200], v[169:170], s[46:47]
	v_add_f64 v[48:49], v[50:51], v[48:49]
	v_fma_f64 v[201:202], v[139:140], s[20:21], -v[199:200]
	v_add_f64 v[46:47], v[201:202], v[46:47]
	v_mul_f64 v[201:202], v[175:176], s[42:43]
	v_fma_f64 v[203:204], v[145:146], s[8:9], v[201:202]
	v_fma_f64 v[50:51], v[145:146], s[8:9], -v[201:202]
	;; [unrolled: 9-line block ×3, first 2 shown]
	v_mul_f64 v[205:206], v[185:186], s[36:37]
	v_add_f64 v[44:45], v[207:208], v[44:45]
	v_mul_f64 v[207:208], v[177:178], s[38:39]
	v_add_f64 v[48:49], v[50:51], v[48:49]
	v_fma_f64 v[209:210], v[151:152], s[18:19], -v[207:208]
	v_add_f64 v[46:47], v[209:210], v[46:47]
	v_mul_f64 v[209:210], v[185:186], s[34:35]
	v_fma_f64 v[50:51], v[153:154], s[24:25], -v[209:210]
	v_fma_f64 v[211:212], v[153:154], s[24:25], v[209:210]
	v_mul_f64 v[209:210], v[161:162], s[34:35]
	v_mul_f64 v[161:162], v[161:162], s[40:41]
	v_add_f64 v[48:49], v[50:51], v[48:49]
	v_fma_f64 v[50:51], v[179:180], s[16:17], v[52:53]
	v_fma_f64 v[52:53], v[131:132], s[14:15], v[54:55]
	v_add_f64 v[44:45], v[211:212], v[44:45]
	v_mul_f64 v[211:212], v[183:184], s[34:35]
	v_fma_f64 v[54:55], v[159:160], s[6:7], v[217:218]
	v_fma_f64 v[66:67], v[131:132], s[8:9], -v[161:162]
	v_add_f64 v[50:51], v[0:1], v[50:51]
	v_fma_f64 v[213:214], v[155:156], s[24:25], -v[211:212]
	v_add_f64 v[50:51], v[52:53], v[50:51]
	v_fma_f64 v[52:53], v[135:136], s[0:1], v[58:59]
	v_mul_f64 v[58:59], v[143:144], s[34:35]
	v_add_f64 v[213:214], v[213:214], v[46:47]
	v_fma_f64 v[46:47], v[157:158], s[6:7], v[215:216]
	v_mul_f64 v[143:144], v[143:144], s[40:41]
	;; [unrolled: 3-line block ×3, first 2 shown]
	v_add_f64 v[46:47], v[46:47], v[44:45]
	v_fma_f64 v[44:45], v[159:160], s[6:7], -v[217:218]
	v_fma_f64 v[64:65], v[127:128], s[8:9], v[143:144]
	v_add_f64 v[50:51], v[52:53], v[50:51]
	v_fma_f64 v[52:53], v[147:148], s[8:9], v[203:204]
	v_mul_f64 v[203:204], v[181:182], s[46:47]
	v_add_f64 v[44:45], v[44:45], v[213:214]
	v_add_f64 v[50:51], v[52:53], v[50:51]
	v_fma_f64 v[52:53], v[151:152], s[18:19], v[207:208]
	v_mul_f64 v[207:208], v[193:194], s[40:41]
	v_add_f64 v[50:51], v[52:53], v[50:51]
	v_fma_f64 v[52:53], v[155:156], s[24:25], v[211:212]
	v_fma_f64 v[211:212], v[131:132], s[24:25], -v[209:210]
	v_add_f64 v[52:53], v[52:53], v[50:51]
	v_fma_f64 v[50:51], v[157:158], s[6:7], -v[215:216]
	v_add_f64 v[50:51], v[50:51], v[48:49]
	v_add_f64 v[48:49], v[54:55], v[52:53]
	v_fma_f64 v[52:53], v[165:166], s[8:9], v[56:57]
	v_fma_f64 v[54:55], v[127:128], s[24:25], v[58:59]
	v_fma_f64 v[56:57], v[165:166], s[8:9], -v[56:57]
	v_fma_f64 v[58:59], v[127:128], s[24:25], -v[58:59]
	v_add_f64 v[52:53], v[2:3], v[52:53]
	v_add_f64 v[56:57], v[2:3], v[56:57]
	;; [unrolled: 1-line block ×3, first 2 shown]
	v_fma_f64 v[54:55], v[133:134], s[14:15], v[197:198]
	v_add_f64 v[56:57], v[58:59], v[56:57]
	v_fma_f64 v[58:59], v[133:134], s[14:15], -v[197:198]
	v_fma_f64 v[197:198], v[131:132], s[24:25], v[209:210]
	v_add_f64 v[52:53], v[54:55], v[52:53]
	v_fma_f64 v[54:55], v[137:138], s[0:1], v[199:200]
	v_add_f64 v[56:57], v[58:59], v[56:57]
	v_fma_f64 v[58:59], v[137:138], s[0:1], -v[199:200]
	v_fma_f64 v[199:200], v[159:160], s[18:19], v[225:226]
	v_add_f64 v[52:53], v[54:55], v[52:53]
	v_fma_f64 v[54:55], v[145:146], s[6:7], v[201:202]
	v_add_f64 v[56:57], v[58:59], v[56:57]
	v_fma_f64 v[58:59], v[145:146], s[6:7], -v[201:202]
	v_add_f64 v[52:53], v[54:55], v[52:53]
	v_fma_f64 v[54:55], v[149:150], s[20:21], v[203:204]
	v_add_f64 v[56:57], v[58:59], v[56:57]
	v_fma_f64 v[58:59], v[149:150], s[20:21], -v[203:204]
	;; [unrolled: 4-line block ×3, first 2 shown]
	v_add_f64 v[52:53], v[54:55], v[52:53]
	v_fma_f64 v[54:55], v[179:180], s[8:9], -v[207:208]
	v_add_f64 v[56:57], v[58:59], v[56:57]
	v_fma_f64 v[58:59], v[179:180], s[8:9], v[207:208]
	v_add_f64 v[54:55], v[0:1], v[54:55]
	v_add_f64 v[58:59], v[0:1], v[58:59]
	;; [unrolled: 1-line block ×3, first 2 shown]
	v_mul_f64 v[211:212], v[163:164], s[26:27]
	v_add_f64 v[58:59], v[197:198], v[58:59]
	v_mul_f64 v[163:164], v[163:164], s[44:45]
	v_fma_f64 v[213:214], v[135:136], s[14:15], -v[211:212]
	v_fma_f64 v[197:198], v[135:136], s[14:15], v[211:212]
	v_fma_f64 v[77:78], v[135:136], s[16:17], -v[163:164]
	v_add_f64 v[54:55], v[213:214], v[54:55]
	v_mul_f64 v[213:214], v[169:170], s[4:5]
	v_add_f64 v[58:59], v[197:198], v[58:59]
	v_mul_f64 v[169:170], v[169:170], s[34:35]
	v_fma_f64 v[215:216], v[139:140], s[0:1], -v[213:214]
	v_fma_f64 v[197:198], v[139:140], s[0:1], v[213:214]
	v_add_f64 v[54:55], v[215:216], v[54:55]
	v_mul_f64 v[215:216], v[173:174], s[48:49]
	v_add_f64 v[58:59], v[197:198], v[58:59]
	v_mul_f64 v[173:174], v[173:174], s[28:29]
	v_fma_f64 v[217:218], v[147:148], s[6:7], -v[215:216]
	v_fma_f64 v[197:198], v[147:148], s[6:7], v[215:216]
	;; [unrolled: 6-line block ×3, first 2 shown]
	v_add_f64 v[54:55], v[219:220], v[54:55]
	v_mul_f64 v[219:220], v[183:184], s[36:37]
	v_add_f64 v[58:59], v[197:198], v[58:59]
	v_fma_f64 v[197:198], v[155:156], s[16:17], v[219:220]
	v_fma_f64 v[221:222], v[155:156], s[16:17], -v[219:220]
	v_add_f64 v[197:198], v[197:198], v[58:59]
	v_fma_f64 v[58:59], v[157:158], s[18:19], -v[223:224]
	v_add_f64 v[221:222], v[221:222], v[54:55]
	v_fma_f64 v[54:55], v[157:158], s[18:19], v[223:224]
	v_add_f64 v[58:59], v[58:59], v[56:57]
	v_add_f64 v[56:57], v[199:200], v[197:198]
	v_fma_f64 v[197:198], v[165:166], s[18:19], v[189:190]
	v_fma_f64 v[165:166], v[165:166], s[18:19], -v[189:190]
	v_mul_f64 v[189:190], v[193:194], s[38:39]
	v_add_f64 v[54:55], v[54:55], v[52:53]
	v_fma_f64 v[52:53], v[159:160], s[18:19], -v[225:226]
	v_add_f64 v[165:166], v[2:3], v[165:166]
	v_fma_f64 v[193:194], v[179:180], s[18:19], -v[189:190]
	v_fma_f64 v[179:180], v[179:180], s[18:19], v[189:190]
	v_add_f64 v[189:190], v[2:3], v[197:198]
	v_add_f64 v[52:53], v[52:53], v[221:222]
	;; [unrolled: 1-line block ×4, first 2 shown]
	v_fma_f64 v[0:1], v[127:128], s[8:9], -v[143:144]
	v_add_f64 v[64:65], v[64:65], v[189:190]
	v_add_f64 v[66:67], v[66:67], v[193:194]
	;; [unrolled: 1-line block ×3, first 2 shown]
	v_mul_f64 v[165:166], v[167:168], s[44:45]
	v_mul_f64 v[167:168], v[171:172], s[34:35]
	;; [unrolled: 1-line block ×7, first 2 shown]
	v_add_f64 v[66:67], v[77:78], v[66:67]
	v_fma_f64 v[2:3], v[133:134], s[16:17], -v[165:166]
	v_fma_f64 v[75:76], v[133:134], s[16:17], v[165:166]
	v_fma_f64 v[79:80], v[137:138], s[24:25], v[167:168]
	;; [unrolled: 1-line block ×3, first 2 shown]
	v_add_f64 v[0:1], v[2:3], v[0:1]
	v_fma_f64 v[2:3], v[137:138], s[24:25], -v[167:168]
	v_add_f64 v[64:65], v[75:76], v[64:65]
	v_fma_f64 v[75:76], v[139:140], s[24:25], -v[169:170]
	;; [unrolled: 2-line block ×4, first 2 shown]
	v_add_f64 v[66:67], v[75:76], v[66:67]
	v_fma_f64 v[75:76], v[149:150], s[14:15], v[175:176]
	v_add_f64 v[0:1], v[2:3], v[0:1]
	v_fma_f64 v[2:3], v[149:150], s[14:15], -v[175:176]
	v_add_f64 v[64:65], v[77:78], v[64:65]
	v_fma_f64 v[77:78], v[151:152], s[14:15], -v[177:178]
	v_add_f64 v[66:67], v[79:80], v[66:67]
	v_fma_f64 v[79:80], v[153:154], s[6:7], v[181:182]
	v_add_f64 v[0:1], v[2:3], v[0:1]
	v_fma_f64 v[2:3], v[153:154], s[6:7], -v[181:182]
	v_add_f64 v[64:65], v[75:76], v[64:65]
	v_add_f64 v[66:67], v[77:78], v[66:67]
	v_fma_f64 v[77:78], v[157:158], s[0:1], v[185:186]
	v_add_f64 v[0:1], v[2:3], v[0:1]
	v_fma_f64 v[2:3], v[131:132], s[8:9], v[161:162]
	v_add_f64 v[64:65], v[79:80], v[64:65]
	v_fma_f64 v[79:80], v[159:160], s[0:1], -v[187:188]
	v_add_f64 v[2:3], v[2:3], v[179:180]
	v_fma_f64 v[179:180], v[135:136], s[16:17], v[163:164]
	v_add_f64 v[2:3], v[179:180], v[2:3]
	v_fma_f64 v[179:180], v[139:140], s[24:25], v[169:170]
	;; [unrolled: 2-line block ×4, first 2 shown]
	v_add_f64 v[2:3], v[179:180], v[2:3]
	v_mul_f64 v[179:180], v[183:184], s[22:23]
	v_fma_f64 v[183:184], v[155:156], s[6:7], v[179:180]
	v_fma_f64 v[75:76], v[155:156], s[6:7], -v[179:180]
	v_add_f64 v[183:184], v[183:184], v[2:3]
	v_fma_f64 v[2:3], v[157:158], s[0:1], -v[185:186]
	v_add_f64 v[75:76], v[75:76], v[66:67]
	v_add_f64 v[66:67], v[77:78], v[64:65]
	;; [unrolled: 1-line block ×3, first 2 shown]
	v_fma_f64 v[0:1], v[159:160], s[0:1], v[187:188]
	v_add_f64 v[64:65], v[79:80], v[75:76]
	v_add_f64 v[0:1], v[0:1], v[183:184]
	ds_write_b128 v195, v[60:63]
	ds_write_b128 v195, v[0:3] offset:800
	ds_write_b128 v195, v[56:59] offset:1600
	ds_write_b128 v195, v[48:51] offset:2400
	ds_write_b128 v195, v[40:43] offset:3200
	ds_write_b128 v195, v[32:35] offset:4000
	ds_write_b128 v195, v[24:27] offset:4800
	ds_write_b128 v195, v[16:19] offset:5600
	ds_write_b128 v195, v[8:11] offset:6400
	ds_write_b128 v195, v[4:7] offset:7200
	ds_write_b128 v195, v[12:15] offset:8000
	ds_write_b128 v195, v[20:23] offset:8800
	ds_write_b128 v195, v[28:31] offset:9600
	ds_write_b128 v195, v[36:39] offset:10400
	ds_write_b128 v195, v[44:47] offset:11200
	ds_write_b128 v195, v[52:55] offset:12000
	ds_write_b128 v195, v[64:67] offset:12800
.LBB0_17:
	s_or_b32 exec_lo, exec_lo, s33
	s_waitcnt lgkmcnt(0)
	s_barrier
	buffer_gl0_inv
	ds_read_b128 v[4:7], v195
	v_sub_nc_u32_e32 v12, 0, v71
	s_add_u32 s1, s12, 0x3480
	s_addc_u32 s4, s13, 0
	s_mov_b32 s5, exec_lo
                                        ; implicit-def: $vgpr0_vgpr1
                                        ; implicit-def: $vgpr8_vgpr9
                                        ; implicit-def: $vgpr10_vgpr11
	v_cmpx_ne_u32_e32 0, v70
	s_xor_b32 s5, exec_lo, s5
	s_cbranch_execz .LBB0_19
; %bb.18:
	v_mov_b32_e32 v71, 0
	v_lshlrev_b64 v[0:1], 4, v[70:71]
	v_add_co_u32 v0, s0, s1, v0
	v_add_co_ci_u32_e64 v1, s0, s4, v1, s0
	global_load_dwordx4 v[13:16], v[0:1], off
	ds_read_b128 v[0:3], v12 offset:13600
	s_waitcnt lgkmcnt(0)
	v_add_f64 v[8:9], v[4:5], -v[0:1]
	v_add_f64 v[10:11], v[6:7], v[2:3]
	v_add_f64 v[2:3], v[6:7], -v[2:3]
	v_add_f64 v[0:1], v[4:5], v[0:1]
	v_mul_f64 v[6:7], v[8:9], 0.5
	v_mul_f64 v[4:5], v[10:11], 0.5
	;; [unrolled: 1-line block ×3, first 2 shown]
	s_waitcnt vmcnt(0)
	v_mul_f64 v[8:9], v[6:7], v[15:16]
	v_fma_f64 v[10:11], v[4:5], v[15:16], v[2:3]
	v_fma_f64 v[2:3], v[4:5], v[15:16], -v[2:3]
	v_fma_f64 v[17:18], v[0:1], 0.5, v[8:9]
	v_fma_f64 v[0:1], v[0:1], 0.5, -v[8:9]
	v_fma_f64 v[10:11], -v[13:14], v[6:7], v[10:11]
	v_fma_f64 v[2:3], -v[13:14], v[6:7], v[2:3]
	v_fma_f64 v[8:9], v[4:5], v[13:14], v[17:18]
	v_fma_f64 v[0:1], -v[4:5], v[13:14], v[0:1]
                                        ; implicit-def: $vgpr4_vgpr5
.LBB0_19:
	s_andn2_saveexec_b32 s0, s5
	s_cbranch_execz .LBB0_21
; %bb.20:
	v_mov_b32_e32 v15, 0
	s_waitcnt lgkmcnt(0)
	v_add_f64 v[8:9], v[4:5], v[6:7]
	v_add_f64 v[0:1], v[4:5], -v[6:7]
	v_mov_b32_e32 v10, 0
	v_mov_b32_e32 v11, 0
	ds_read_b64 v[13:14], v15 offset:6808
	v_mov_b32_e32 v2, v10
	v_mov_b32_e32 v3, v11
	s_waitcnt lgkmcnt(0)
	v_xor_b32_e32 v14, 0x80000000, v14
	ds_write_b64 v15, v[13:14] offset:6808
.LBB0_21:
	s_or_b32 exec_lo, exec_lo, s0
	v_mov_b32_e32 v75, 0
	ds_write2_b64 v195, v[8:9], v[10:11] offset1:1
	ds_write_b128 v12, v[0:3] offset:13600
	s_waitcnt lgkmcnt(2)
	v_lshlrev_b64 v[4:5], 4, v[74:75]
	v_add_nc_u32_e32 v74, 0xaa, v70
	v_lshlrev_b64 v[13:14], 4, v[74:75]
	v_add_co_u32 v4, s0, s1, v4
	v_add_co_ci_u32_e64 v5, s0, s4, v5, s0
	v_add_nc_u32_e32 v74, 0xff, v70
	v_add_co_u32 v13, s0, s1, v13
	global_load_dwordx4 v[4:7], v[4:5], off
	v_add_co_ci_u32_e64 v14, s0, s4, v14, s0
	v_lshlrev_b64 v[17:18], 4, v[74:75]
	v_add_nc_u32_e32 v74, 0x154, v70
	global_load_dwordx4 v[13:16], v[13:14], off
	ds_read_b128 v[0:3], v196
	ds_read_b128 v[8:11], v12 offset:12240
	v_add_co_u32 v17, s0, s1, v17
	v_add_co_ci_u32_e64 v18, s0, s4, v18, s0
	global_load_dwordx4 v[17:20], v[17:18], off
	s_waitcnt lgkmcnt(0)
	v_add_f64 v[21:22], v[0:1], -v[8:9]
	v_add_f64 v[23:24], v[2:3], v[10:11]
	v_add_f64 v[2:3], v[2:3], -v[10:11]
	v_add_f64 v[0:1], v[0:1], v[8:9]
	v_mul_f64 v[10:11], v[21:22], 0.5
	v_mul_f64 v[21:22], v[23:24], 0.5
	;; [unrolled: 1-line block ×3, first 2 shown]
	s_waitcnt vmcnt(2)
	v_mul_f64 v[8:9], v[10:11], v[6:7]
	v_fma_f64 v[23:24], v[21:22], v[6:7], v[2:3]
	v_fma_f64 v[2:3], v[21:22], v[6:7], -v[2:3]
	v_fma_f64 v[6:7], v[0:1], 0.5, v[8:9]
	v_fma_f64 v[0:1], v[0:1], 0.5, -v[8:9]
	v_fma_f64 v[8:9], -v[4:5], v[10:11], v[23:24]
	v_fma_f64 v[2:3], -v[4:5], v[10:11], v[2:3]
	v_lshlrev_b64 v[10:11], 4, v[74:75]
	v_fma_f64 v[6:7], v[21:22], v[4:5], v[6:7]
	v_fma_f64 v[0:1], -v[21:22], v[4:5], v[0:1]
	ds_write2_b64 v196, v[6:7], v[8:9] offset1:1
	ds_write_b128 v12, v[0:3] offset:12240
	v_add_co_u32 v8, s0, s1, v10
	ds_read_b128 v[0:3], v195 offset:2720
	ds_read_b128 v[4:7], v12 offset:10880
	v_add_co_ci_u32_e64 v9, s0, s4, v11, s0
	global_load_dwordx4 v[8:11], v[8:9], off
	s_waitcnt lgkmcnt(0)
	v_add_f64 v[21:22], v[0:1], -v[4:5]
	v_add_f64 v[23:24], v[2:3], v[6:7]
	v_add_f64 v[2:3], v[2:3], -v[6:7]
	v_add_f64 v[0:1], v[0:1], v[4:5]
	v_mul_f64 v[6:7], v[21:22], 0.5
	v_mul_f64 v[21:22], v[23:24], 0.5
	v_mul_f64 v[2:3], v[2:3], 0.5
	s_waitcnt vmcnt(2)
	v_mul_f64 v[4:5], v[6:7], v[15:16]
	v_fma_f64 v[23:24], v[21:22], v[15:16], v[2:3]
	v_fma_f64 v[2:3], v[21:22], v[15:16], -v[2:3]
	v_fma_f64 v[15:16], v[0:1], 0.5, v[4:5]
	v_fma_f64 v[0:1], v[0:1], 0.5, -v[4:5]
	v_fma_f64 v[4:5], -v[13:14], v[6:7], v[23:24]
	v_fma_f64 v[2:3], -v[13:14], v[6:7], v[2:3]
	v_fma_f64 v[6:7], v[21:22], v[13:14], v[15:16]
	v_fma_f64 v[0:1], -v[21:22], v[13:14], v[0:1]
	v_add_nc_u32_e32 v21, 0x800, v195
	ds_write2_b64 v21, v[6:7], v[4:5] offset0:84 offset1:85
	ds_write_b128 v12, v[0:3] offset:10880
	ds_read_b128 v[0:3], v195 offset:4080
	ds_read_b128 v[4:7], v12 offset:9520
	s_waitcnt lgkmcnt(0)
	v_add_f64 v[13:14], v[0:1], -v[4:5]
	v_add_f64 v[15:16], v[2:3], v[6:7]
	v_add_f64 v[2:3], v[2:3], -v[6:7]
	v_add_f64 v[0:1], v[0:1], v[4:5]
	v_mul_f64 v[6:7], v[13:14], 0.5
	v_mul_f64 v[13:14], v[15:16], 0.5
	;; [unrolled: 1-line block ×3, first 2 shown]
	s_waitcnt vmcnt(1)
	v_mul_f64 v[4:5], v[6:7], v[19:20]
	v_fma_f64 v[15:16], v[13:14], v[19:20], v[2:3]
	v_fma_f64 v[2:3], v[13:14], v[19:20], -v[2:3]
	v_fma_f64 v[19:20], v[0:1], 0.5, v[4:5]
	v_fma_f64 v[0:1], v[0:1], 0.5, -v[4:5]
	v_fma_f64 v[4:5], -v[17:18], v[6:7], v[15:16]
	v_fma_f64 v[2:3], -v[17:18], v[6:7], v[2:3]
	v_fma_f64 v[6:7], v[13:14], v[17:18], v[19:20]
	v_fma_f64 v[0:1], -v[13:14], v[17:18], v[0:1]
	ds_write2_b64 v21, v[6:7], v[4:5] offset0:254 offset1:255
	ds_write_b128 v12, v[0:3] offset:9520
	ds_read_b128 v[0:3], v195 offset:5440
	ds_read_b128 v[4:7], v12 offset:8160
	s_waitcnt lgkmcnt(0)
	v_add_f64 v[13:14], v[0:1], -v[4:5]
	v_add_f64 v[15:16], v[2:3], v[6:7]
	v_add_f64 v[2:3], v[2:3], -v[6:7]
	v_add_f64 v[0:1], v[0:1], v[4:5]
	v_mul_f64 v[6:7], v[13:14], 0.5
	v_mul_f64 v[13:14], v[15:16], 0.5
	;; [unrolled: 1-line block ×3, first 2 shown]
	s_waitcnt vmcnt(0)
	v_mul_f64 v[4:5], v[6:7], v[10:11]
	v_fma_f64 v[15:16], v[13:14], v[10:11], v[2:3]
	v_fma_f64 v[2:3], v[13:14], v[10:11], -v[2:3]
	v_fma_f64 v[10:11], v[0:1], 0.5, v[4:5]
	v_fma_f64 v[0:1], v[0:1], 0.5, -v[4:5]
	v_fma_f64 v[4:5], -v[8:9], v[6:7], v[15:16]
	v_fma_f64 v[2:3], -v[8:9], v[6:7], v[2:3]
	v_fma_f64 v[6:7], v[13:14], v[8:9], v[10:11]
	v_fma_f64 v[0:1], -v[13:14], v[8:9], v[0:1]
	v_add_nc_u32_e32 v8, 0x1000, v195
	ds_write2_b64 v8, v[6:7], v[4:5] offset0:168 offset1:169
	ds_write_b128 v12, v[0:3] offset:8160
	s_waitcnt lgkmcnt(0)
	s_barrier
	buffer_gl0_inv
	s_and_saveexec_b32 s0, vcc_lo
	s_cbranch_execz .LBB0_24
; %bb.22:
	v_mul_lo_u32 v2, s3, v72
	v_mul_lo_u32 v3, s2, v73
	v_mad_u64_u32 v[0:1], null, s2, v72, 0
	v_lshl_add_u32 v26, v70, 4, 0
	v_mov_b32_e32 v71, v75
	v_lshlrev_b64 v[10:11], 4, v[68:69]
	v_add_nc_u32_e32 v74, 0x55, v70
	v_add3_u32 v1, v1, v3, v2
	ds_read_b128 v[2:5], v26
	ds_read_b128 v[6:9], v26 offset:1360
	v_lshlrev_b64 v[12:13], 4, v[70:71]
	v_lshlrev_b64 v[14:15], 4, v[74:75]
	v_add_nc_u32_e32 v74, 0xaa, v70
	v_lshlrev_b64 v[0:1], 4, v[0:1]
	v_add_co_u32 v0, vcc_lo, s10, v0
	v_add_co_ci_u32_e32 v1, vcc_lo, s11, v1, vcc_lo
	v_add_co_u32 v0, vcc_lo, v0, v10
	v_add_co_ci_u32_e32 v1, vcc_lo, v1, v11, vcc_lo
	;; [unrolled: 2-line block ×4, first 2 shown]
	v_lshlrev_b64 v[14:15], 4, v[74:75]
	v_add_nc_u32_e32 v74, 0xff, v70
	s_waitcnt lgkmcnt(1)
	global_store_dwordx4 v[10:11], v[2:5], off
	s_waitcnt lgkmcnt(0)
	global_store_dwordx4 v[12:13], v[6:9], off
	ds_read_b128 v[2:5], v26 offset:2720
	ds_read_b128 v[6:9], v26 offset:4080
	v_lshlrev_b64 v[18:19], 4, v[74:75]
	v_add_nc_u32_e32 v74, 0x154, v70
	v_add_co_u32 v20, vcc_lo, v0, v14
	v_add_co_ci_u32_e32 v21, vcc_lo, v1, v15, vcc_lo
	ds_read_b128 v[10:13], v26 offset:5440
	ds_read_b128 v[14:17], v26 offset:6800
	v_lshlrev_b64 v[22:23], 4, v[74:75]
	v_add_nc_u32_e32 v74, 0x1a9, v70
	v_add_co_u32 v18, vcc_lo, v0, v18
	v_add_co_ci_u32_e32 v19, vcc_lo, v1, v19, vcc_lo
	v_lshlrev_b64 v[24:25], 4, v[74:75]
	v_add_nc_u32_e32 v74, 0x1fe, v70
	v_add_co_u32 v22, vcc_lo, v0, v22
	s_waitcnt lgkmcnt(3)
	global_store_dwordx4 v[20:21], v[2:5], off
	v_add_co_ci_u32_e32 v23, vcc_lo, v1, v23, vcc_lo
	v_lshlrev_b64 v[2:3], 4, v[74:75]
	v_add_nc_u32_e32 v74, 0x253, v70
	v_add_co_u32 v24, vcc_lo, v0, v24
	v_add_co_ci_u32_e32 v25, vcc_lo, v1, v25, vcc_lo
	v_lshlrev_b64 v[20:21], 4, v[74:75]
	v_add_nc_u32_e32 v74, 0x2a8, v70
	s_waitcnt lgkmcnt(2)
	global_store_dwordx4 v[18:19], v[6:9], off
	s_waitcnt lgkmcnt(1)
	global_store_dwordx4 v[22:23], v[10:13], off
	;; [unrolled: 2-line block ×3, first 2 shown]
	v_add_co_u32 v18, vcc_lo, v0, v2
	v_add_co_ci_u32_e32 v19, vcc_lo, v1, v3, vcc_lo
	ds_read_b128 v[2:5], v26 offset:8160
	ds_read_b128 v[6:9], v26 offset:9520
	;; [unrolled: 1-line block ×4, first 2 shown]
	v_lshlrev_b64 v[22:23], 4, v[74:75]
	v_add_nc_u32_e32 v74, 0x2fd, v70
	v_add_co_u32 v20, vcc_lo, v0, v20
	v_add_co_ci_u32_e32 v21, vcc_lo, v1, v21, vcc_lo
	v_lshlrev_b64 v[24:25], 4, v[74:75]
	v_add_co_u32 v22, vcc_lo, v0, v22
	v_add_co_ci_u32_e32 v23, vcc_lo, v1, v23, vcc_lo
	v_add_co_u32 v24, vcc_lo, v0, v24
	v_add_co_ci_u32_e32 v25, vcc_lo, v1, v25, vcc_lo
	v_cmp_eq_u32_e32 vcc_lo, 0x54, v70
	s_waitcnt lgkmcnt(3)
	global_store_dwordx4 v[18:19], v[2:5], off
	s_waitcnt lgkmcnt(2)
	global_store_dwordx4 v[20:21], v[6:9], off
	;; [unrolled: 2-line block ×4, first 2 shown]
	s_and_b32 exec_lo, exec_lo, vcc_lo
	s_cbranch_execz .LBB0_24
; %bb.23:
	v_mov_b32_e32 v2, 0
	v_add_co_u32 v0, vcc_lo, 0x3000, v0
	v_add_co_ci_u32_e32 v1, vcc_lo, 0, v1, vcc_lo
	ds_read_b128 v[2:5], v2 offset:13600
	s_waitcnt lgkmcnt(0)
	global_store_dwordx4 v[0:1], v[2:5], off offset:1312
.LBB0_24:
	s_endpgm
	.section	.rodata,"a",@progbits
	.p2align	6, 0x0
	.amdhsa_kernel fft_rtc_back_len850_factors_10_5_17_wgs_85_tpt_85_dp_op_CI_CI_unitstride_sbrr_R2C_dirReg
		.amdhsa_group_segment_fixed_size 0
		.amdhsa_private_segment_fixed_size 0
		.amdhsa_kernarg_size 104
		.amdhsa_user_sgpr_count 6
		.amdhsa_user_sgpr_private_segment_buffer 1
		.amdhsa_user_sgpr_dispatch_ptr 0
		.amdhsa_user_sgpr_queue_ptr 0
		.amdhsa_user_sgpr_kernarg_segment_ptr 1
		.amdhsa_user_sgpr_dispatch_id 0
		.amdhsa_user_sgpr_flat_scratch_init 0
		.amdhsa_user_sgpr_private_segment_size 0
		.amdhsa_wavefront_size32 1
		.amdhsa_uses_dynamic_stack 0
		.amdhsa_system_sgpr_private_segment_wavefront_offset 0
		.amdhsa_system_sgpr_workgroup_id_x 1
		.amdhsa_system_sgpr_workgroup_id_y 0
		.amdhsa_system_sgpr_workgroup_id_z 0
		.amdhsa_system_sgpr_workgroup_info 0
		.amdhsa_system_vgpr_workitem_id 0
		.amdhsa_next_free_vgpr 227
		.amdhsa_next_free_sgpr 54
		.amdhsa_reserve_vcc 1
		.amdhsa_reserve_flat_scratch 0
		.amdhsa_float_round_mode_32 0
		.amdhsa_float_round_mode_16_64 0
		.amdhsa_float_denorm_mode_32 3
		.amdhsa_float_denorm_mode_16_64 3
		.amdhsa_dx10_clamp 1
		.amdhsa_ieee_mode 1
		.amdhsa_fp16_overflow 0
		.amdhsa_workgroup_processor_mode 1
		.amdhsa_memory_ordered 1
		.amdhsa_forward_progress 0
		.amdhsa_shared_vgpr_count 0
		.amdhsa_exception_fp_ieee_invalid_op 0
		.amdhsa_exception_fp_denorm_src 0
		.amdhsa_exception_fp_ieee_div_zero 0
		.amdhsa_exception_fp_ieee_overflow 0
		.amdhsa_exception_fp_ieee_underflow 0
		.amdhsa_exception_fp_ieee_inexact 0
		.amdhsa_exception_int_div_zero 0
	.end_amdhsa_kernel
	.text
.Lfunc_end0:
	.size	fft_rtc_back_len850_factors_10_5_17_wgs_85_tpt_85_dp_op_CI_CI_unitstride_sbrr_R2C_dirReg, .Lfunc_end0-fft_rtc_back_len850_factors_10_5_17_wgs_85_tpt_85_dp_op_CI_CI_unitstride_sbrr_R2C_dirReg
                                        ; -- End function
	.section	.AMDGPU.csdata,"",@progbits
; Kernel info:
; codeLenInByte = 13696
; NumSgprs: 56
; NumVgprs: 227
; ScratchSize: 0
; MemoryBound: 0
; FloatMode: 240
; IeeeMode: 1
; LDSByteSize: 0 bytes/workgroup (compile time only)
; SGPRBlocks: 6
; VGPRBlocks: 28
; NumSGPRsForWavesPerEU: 56
; NumVGPRsForWavesPerEU: 227
; Occupancy: 4
; WaveLimiterHint : 1
; COMPUTE_PGM_RSRC2:SCRATCH_EN: 0
; COMPUTE_PGM_RSRC2:USER_SGPR: 6
; COMPUTE_PGM_RSRC2:TRAP_HANDLER: 0
; COMPUTE_PGM_RSRC2:TGID_X_EN: 1
; COMPUTE_PGM_RSRC2:TGID_Y_EN: 0
; COMPUTE_PGM_RSRC2:TGID_Z_EN: 0
; COMPUTE_PGM_RSRC2:TIDIG_COMP_CNT: 0
	.text
	.p2alignl 6, 3214868480
	.fill 48, 4, 3214868480
	.type	__hip_cuid_1077148253d1ce69,@object ; @__hip_cuid_1077148253d1ce69
	.section	.bss,"aw",@nobits
	.globl	__hip_cuid_1077148253d1ce69
__hip_cuid_1077148253d1ce69:
	.byte	0                               ; 0x0
	.size	__hip_cuid_1077148253d1ce69, 1

	.ident	"AMD clang version 19.0.0git (https://github.com/RadeonOpenCompute/llvm-project roc-6.4.0 25133 c7fe45cf4b819c5991fe208aaa96edf142730f1d)"
	.section	".note.GNU-stack","",@progbits
	.addrsig
	.addrsig_sym __hip_cuid_1077148253d1ce69
	.amdgpu_metadata
---
amdhsa.kernels:
  - .args:
      - .actual_access:  read_only
        .address_space:  global
        .offset:         0
        .size:           8
        .value_kind:     global_buffer
      - .offset:         8
        .size:           8
        .value_kind:     by_value
      - .actual_access:  read_only
        .address_space:  global
        .offset:         16
        .size:           8
        .value_kind:     global_buffer
      - .actual_access:  read_only
        .address_space:  global
        .offset:         24
        .size:           8
        .value_kind:     global_buffer
      - .actual_access:  read_only
        .address_space:  global
        .offset:         32
        .size:           8
        .value_kind:     global_buffer
      - .offset:         40
        .size:           8
        .value_kind:     by_value
      - .actual_access:  read_only
        .address_space:  global
        .offset:         48
        .size:           8
        .value_kind:     global_buffer
      - .actual_access:  read_only
        .address_space:  global
        .offset:         56
        .size:           8
        .value_kind:     global_buffer
      - .offset:         64
        .size:           4
        .value_kind:     by_value
      - .actual_access:  read_only
        .address_space:  global
        .offset:         72
        .size:           8
        .value_kind:     global_buffer
      - .actual_access:  read_only
        .address_space:  global
        .offset:         80
        .size:           8
        .value_kind:     global_buffer
      - .actual_access:  read_only
        .address_space:  global
        .offset:         88
        .size:           8
        .value_kind:     global_buffer
      - .actual_access:  write_only
        .address_space:  global
        .offset:         96
        .size:           8
        .value_kind:     global_buffer
    .group_segment_fixed_size: 0
    .kernarg_segment_align: 8
    .kernarg_segment_size: 104
    .language:       OpenCL C
    .language_version:
      - 2
      - 0
    .max_flat_workgroup_size: 85
    .name:           fft_rtc_back_len850_factors_10_5_17_wgs_85_tpt_85_dp_op_CI_CI_unitstride_sbrr_R2C_dirReg
    .private_segment_fixed_size: 0
    .sgpr_count:     56
    .sgpr_spill_count: 0
    .symbol:         fft_rtc_back_len850_factors_10_5_17_wgs_85_tpt_85_dp_op_CI_CI_unitstride_sbrr_R2C_dirReg.kd
    .uniform_work_group_size: 1
    .uses_dynamic_stack: false
    .vgpr_count:     227
    .vgpr_spill_count: 0
    .wavefront_size: 32
    .workgroup_processor_mode: 1
amdhsa.target:   amdgcn-amd-amdhsa--gfx1030
amdhsa.version:
  - 1
  - 2
...

	.end_amdgpu_metadata
